;; amdgpu-corpus repo=ROCm/rocFFT kind=compiled arch=gfx906 opt=O3
	.text
	.amdgcn_target "amdgcn-amd-amdhsa--gfx906"
	.amdhsa_code_object_version 6
	.protected	bluestein_single_fwd_len3600_dim1_dp_op_CI_CI ; -- Begin function bluestein_single_fwd_len3600_dim1_dp_op_CI_CI
	.globl	bluestein_single_fwd_len3600_dim1_dp_op_CI_CI
	.p2align	8
	.type	bluestein_single_fwd_len3600_dim1_dp_op_CI_CI,@function
bluestein_single_fwd_len3600_dim1_dp_op_CI_CI: ; @bluestein_single_fwd_len3600_dim1_dp_op_CI_CI
; %bb.0:
	s_load_dwordx4 s[16:19], s[4:5], 0x28
	s_mov_b64 s[46:47], s[2:3]
	v_mul_u32_u24_e32 v1, 0x223, v0
	s_mov_b64 s[44:45], s[0:1]
	v_add_u32_sdwa v2, s6, v1 dst_sel:DWORD dst_unused:UNUSED_PAD src0_sel:DWORD src1_sel:WORD_1
	v_mov_b32_e32 v3, 0
	s_add_u32 s44, s44, s7
	s_waitcnt lgkmcnt(0)
	v_cmp_gt_u64_e32 vcc, s[16:17], v[2:3]
	s_addc_u32 s45, s45, 0
	s_and_saveexec_b64 s[0:1], vcc
	s_cbranch_execz .LBB0_2
; %bb.1:
	s_load_dwordx4 s[0:3], s[4:5], 0x18
	s_load_dwordx4 s[8:11], s[4:5], 0x0
	v_mov_b32_e32 v4, v2
	s_movk_i32 s24, 0x78
	v_mul_lo_u16_sdwa v1, v1, s24 dst_sel:DWORD dst_unused:UNUSED_PAD src0_sel:WORD_1 src1_sel:DWORD
	s_waitcnt lgkmcnt(0)
	s_load_dwordx4 s[12:15], s[0:1], 0x0
	buffer_store_dword v4, off, s[44:47], 0 offset:36 ; 4-byte Folded Spill
	s_nop 0
	buffer_store_dword v5, off, s[44:47], 0 offset:40 ; 4-byte Folded Spill
	v_sub_u16_e32 v192, v0, v1
	v_lshlrev_b32_e32 v164, 4, v192
	s_add_u32 s26, s8, 0xe100
	s_waitcnt lgkmcnt(0)
	v_mad_u64_u32 v[0:1], s[0:1], s14, v2, 0
	v_mad_u64_u32 v[2:3], s[0:1], s12, v192, 0
	s_mul_hi_u32 s6, s12, 0x1680
	s_addc_u32 s27, s9, 0
	s_mul_i32 s7, s12, 0x1680
	s_movk_i32 s29, 0x1000
	s_movk_i32 s30, 0x2000
	global_load_dwordx4 v[80:83], v164, s[8:9]
	s_movk_i32 s35, 0x4000
	s_movk_i32 s36, 0x5000
	;; [unrolled: 1-line block ×3, first 2 shown]
	s_mov_b32 s38, 0x8000
	s_mov_b32 s39, 0x9000
	;; [unrolled: 1-line block ×4, first 2 shown]
	s_movk_i32 s28, 0x3000
	s_movk_i32 s31, 0x6000
	s_mov_b32 s33, 0xa000
	v_mov_b32_e32 v92, 0xffff3d00
	s_mov_b32 s34, 0xd000
	s_mov_b32 s22, 0x9b97f4a8
	;; [unrolled: 1-line block ×4, first 2 shown]
	s_movk_i32 s42, 0xcd
	s_movk_i32 s43, 0x90
	s_load_dwordx2 s[4:5], s[4:5], 0x38
	v_mad_u64_u32 v[4:5], s[0:1], s15, v4, v[1:2]
	v_mad_u64_u32 v[5:6], s[0:1], s13, v192, v[3:4]
	v_mov_b32_e32 v1, v4
	v_lshlrev_b64 v[0:1], 4, v[0:1]
	v_mov_b32_e32 v3, v5
	v_add_co_u32_e32 v36, vcc, s18, v0
	v_mov_b32_e32 v0, s19
	v_addc_co_u32_e32 v37, vcc, v0, v1, vcc
	v_lshlrev_b64 v[0:1], 4, v[2:3]
	v_mov_b32_e32 v2, s9
	v_add_co_u32_e32 v0, vcc, v36, v0
	v_addc_co_u32_e32 v1, vcc, v37, v1, vcc
	v_add_co_u32_e32 v57, vcc, s8, v164
	s_mul_i32 s0, s13, 0x1680
	v_addc_co_u32_e32 v56, vcc, 0, v2, vcc
	s_add_i32 s6, s6, s0
	global_load_dwordx4 v[16:19], v[0:1], off
	v_add_co_u32_e32 v0, vcc, s7, v0
	v_mov_b32_e32 v2, s6
	v_addc_co_u32_e32 v1, vcc, v1, v2, vcc
	global_load_dwordx4 v[20:23], v[0:1], off
	v_add_co_u32_e32 v8, vcc, s29, v57
	v_addc_co_u32_e32 v9, vcc, 0, v56, vcc
	v_add_co_u32_e32 v0, vcc, s7, v0
	v_addc_co_u32_e32 v1, vcc, v1, v2, vcc
	;; [unrolled: 2-line block ×3, first 2 shown]
	global_load_dwordx4 v[24:27], v[0:1], off
	v_add_co_u32_e32 v0, vcc, s7, v0
	v_addc_co_u32_e32 v1, vcc, v1, v2, vcc
	global_load_dwordx4 v[28:31], v[0:1], off
	global_load_dwordx4 v[84:87], v[8:9], off offset:1664
	v_add_co_u32_e32 v54, vcc, s35, v57
	v_addc_co_u32_e32 v55, vcc, 0, v56, vcc
	global_load_dwordx4 v[118:121], v[54:55], off offset:896
	v_add_co_u32_e32 v0, vcc, s7, v0
	v_addc_co_u32_e32 v1, vcc, v1, v2, vcc
	v_add_co_u32_e32 v72, vcc, s36, v57
	v_addc_co_u32_e32 v73, vcc, 0, v56, vcc
	global_load_dwordx4 v[32:35], v[0:1], off
	v_add_co_u32_e32 v0, vcc, s7, v0
	global_load_dwordx4 v[114:117], v[70:71], off offset:3328
	global_load_dwordx4 v[122:125], v[72:73], off offset:2560
	v_addc_co_u32_e32 v1, vcc, v1, v2, vcc
	v_add_co_u32_e32 v64, vcc, s37, v57
	v_addc_co_u32_e32 v65, vcc, 0, v56, vcc
	global_load_dwordx4 v[126:129], v[64:65], off offset:128
	global_load_dwordx4 v[38:41], v[0:1], off
	v_add_co_u32_e32 v0, vcc, s7, v0
	v_addc_co_u32_e32 v1, vcc, v1, v2, vcc
	v_add_co_u32_e32 v62, vcc, s38, v57
	v_addc_co_u32_e32 v63, vcc, 0, v56, vcc
	global_load_dwordx4 v[130:133], v[62:63], off offset:1792
	global_load_dwordx4 v[42:45], v[0:1], off
	v_add_co_u32_e32 v0, vcc, s7, v0
	v_addc_co_u32_e32 v1, vcc, v1, v2, vcc
	global_load_dwordx4 v[46:49], v[0:1], off
	v_add_co_u32_e32 v66, vcc, s39, v57
	v_addc_co_u32_e32 v67, vcc, 0, v56, vcc
	v_add_co_u32_e32 v0, vcc, s7, v0
	v_addc_co_u32_e32 v1, vcc, v1, v2, vcc
	;; [unrolled: 2-line block ×3, first 2 shown]
	global_load_dwordx4 v[50:53], v[0:1], off
	v_add_co_u32_e32 v0, vcc, s7, v0
	v_addc_co_u32_e32 v1, vcc, v1, v2, vcc
	global_load_dwordx4 v[58:61], v[0:1], off
	v_mov_b32_e32 v2, 0xffff3d00
	v_mad_u64_u32 v[4:5], s[0:1], s12, v2, v[0:1]
	s_mul_i32 s0, s13, 0xffff3d00
	v_add_co_u32_e32 v68, vcc, s41, v57
	s_sub_i32 s14, s0, s12
	v_addc_co_u32_e32 v69, vcc, 0, v56, vcc
	v_add_u32_e32 v5, s14, v5
	global_load_dwordx4 v[134:137], v[66:67], off offset:3456
	global_load_dwordx4 v[102:105], v[68:69], off offset:2688
	;; [unrolled: 1-line block ×3, first 2 shown]
	global_load_dwordx4 v[0:3], v[4:5], off
	global_load_dwordx4 v[98:101], v164, s[8:9] offset:1920
	v_add_co_u32_e32 v10, vcc, s7, v4
	v_mov_b32_e32 v4, s6
	v_addc_co_u32_e32 v11, vcc, v5, v4, vcc
	global_load_dwordx4 v[4:7], v[10:11], off
	global_load_dwordx4 v[106:109], v[8:9], off offset:3584
	v_add_co_u32_e32 v12, vcc, s7, v10
	v_mov_b32_e32 v8, s6
	v_addc_co_u32_e32 v13, vcc, v11, v8, vcc
	v_add_co_u32_e32 v96, vcc, s28, v57
	v_addc_co_u32_e32 v97, vcc, 0, v56, vcc
	global_load_dwordx4 v[8:11], v[12:13], off
	v_add_co_u32_e32 v90, vcc, s7, v12
	v_mov_b32_e32 v12, s6
	v_addc_co_u32_e32 v91, vcc, v13, v12, vcc
	global_load_dwordx4 v[110:113], v[96:97], off offset:1152
	global_load_dwordx4 v[12:15], v[90:91], off
	global_load_dwordx4 v[156:159], v[54:55], off offset:2816
	s_waitcnt vmcnt(27)
	buffer_store_dword v80, off, s[44:47], 0 offset:316 ; 4-byte Folded Spill
	s_nop 0
	buffer_store_dword v81, off, s[44:47], 0 offset:320 ; 4-byte Folded Spill
	buffer_store_dword v82, off, s[44:47], 0 offset:324 ; 4-byte Folded Spill
	buffer_store_dword v83, off, s[44:47], 0 offset:328 ; 4-byte Folded Spill
	s_waitcnt vmcnt(26)
	buffer_store_dword v84, off, s[44:47], 0 offset:300 ; 4-byte Folded Spill
	s_nop 0
	buffer_store_dword v85, off, s[44:47], 0 offset:304 ; 4-byte Folded Spill
	buffer_store_dword v86, off, s[44:47], 0 offset:308 ; 4-byte Folded Spill
	buffer_store_dword v87, off, s[44:47], 0 offset:312 ; 4-byte Folded Spill
	;; [unrolled: 6-line block ×3, first 2 shown]
	buffer_store_dword v118, off, s[44:47], 0 offset:236 ; 4-byte Folded Spill
	s_nop 0
	buffer_store_dword v119, off, s[44:47], 0 offset:240 ; 4-byte Folded Spill
	buffer_store_dword v120, off, s[44:47], 0 offset:244 ; 4-byte Folded Spill
	;; [unrolled: 1-line block ×3, first 2 shown]
	s_waitcnt vmcnt(34)
	buffer_store_dword v122, off, s[44:47], 0 offset:220 ; 4-byte Folded Spill
	s_nop 0
	buffer_store_dword v123, off, s[44:47], 0 offset:224 ; 4-byte Folded Spill
	buffer_store_dword v124, off, s[44:47], 0 offset:228 ; 4-byte Folded Spill
	;; [unrolled: 1-line block ×3, first 2 shown]
	s_waitcnt vmcnt(37)
	buffer_store_dword v126, off, s[44:47], 0 offset:204 ; 4-byte Folded Spill
	s_nop 0
	buffer_store_dword v127, off, s[44:47], 0 offset:208 ; 4-byte Folded Spill
	buffer_store_dword v128, off, s[44:47], 0 offset:212 ; 4-byte Folded Spill
	;; [unrolled: 1-line block ×3, first 2 shown]
	s_load_dwordx4 s[0:3], s[2:3], 0x0
	s_mov_b32 s19, 0xbfe9e377
	s_mov_b32 s18, s22
	s_waitcnt vmcnt(30)
	v_mov_b32_e32 v196, v101
	v_mov_b32_e32 v195, v100
	;; [unrolled: 1-line block ×4, first 2 shown]
	s_waitcnt vmcnt(28)
	v_mov_b32_e32 v191, v109
	v_mov_b32_e32 v190, v108
	;; [unrolled: 1-line block ×4, first 2 shown]
	v_mul_f64 v[54:55], v[18:19], v[82:83]
	v_mul_f64 v[74:75], v[16:17], v[82:83]
	;; [unrolled: 1-line block ×5, first 2 shown]
	s_waitcnt vmcnt(26)
	v_mov_b32_e32 v187, v113
	v_mov_b32_e32 v186, v112
	;; [unrolled: 1-line block ×3, first 2 shown]
	v_fma_f64 v[16:17], v[16:17], v[80:81], v[54:55]
	v_fma_f64 v[18:19], v[18:19], v[80:81], -v[74:75]
	v_mul_f64 v[54:55], v[26:27], v[116:117]
	v_mul_f64 v[74:75], v[24:25], v[116:117]
	v_fma_f64 v[20:21], v[20:21], v[84:85], v[76:77]
	v_fma_f64 v[22:23], v[22:23], v[84:85], -v[78:79]
	v_mul_f64 v[76:77], v[30:31], v[120:121]
	v_mul_f64 v[78:79], v[28:29], v[120:121]
	;; [unrolled: 1-line block ×5, first 2 shown]
	v_fma_f64 v[24:25], v[24:25], v[114:115], v[54:55]
	v_fma_f64 v[26:27], v[26:27], v[114:115], -v[74:75]
	v_fma_f64 v[34:35], v[34:35], v[122:123], -v[82:83]
	v_fma_f64 v[28:29], v[28:29], v[118:119], v[76:77]
	v_fma_f64 v[30:31], v[30:31], v[118:119], -v[78:79]
	v_fma_f64 v[32:33], v[32:33], v[122:123], v[80:81]
	v_fma_f64 v[38:39], v[38:39], v[126:127], v[84:85]
	v_fma_f64 v[40:41], v[40:41], v[126:127], -v[86:87]
	ds_write_b128 v164, v[16:19]
	ds_write_b128 v164, v[20:23] offset:5760
	ds_write_b128 v164, v[24:27] offset:11520
	;; [unrolled: 1-line block ×5, first 2 shown]
	buffer_store_dword v130, off, s[44:47], 0 offset:188 ; 4-byte Folded Spill
	s_nop 0
	buffer_store_dword v131, off, s[44:47], 0 offset:192 ; 4-byte Folded Spill
	buffer_store_dword v132, off, s[44:47], 0 offset:196 ; 4-byte Folded Spill
	buffer_store_dword v133, off, s[44:47], 0 offset:200 ; 4-byte Folded Spill
	buffer_store_dword v134, off, s[44:47], 0 offset:172 ; 4-byte Folded Spill
	s_nop 0
	buffer_store_dword v135, off, s[44:47], 0 offset:176 ; 4-byte Folded Spill
	buffer_store_dword v136, off, s[44:47], 0 offset:180 ; 4-byte Folded Spill
	buffer_store_dword v137, off, s[44:47], 0 offset:184 ; 4-byte Folded Spill
	;; [unrolled: 5-line block ×4, first 2 shown]
	v_add_co_u32_e32 v40, vcc, s7, v90
	v_mov_b32_e32 v32, s6
	v_addc_co_u32_e32 v41, vcc, v91, v32, vcc
	v_mul_f64 v[74:75], v[2:3], v[100:101]
	v_mul_f64 v[76:77], v[0:1], v[100:101]
	v_add_co_u32_e32 v100, vcc, s31, v57
	v_addc_co_u32_e32 v101, vcc, 0, v56, vcc
	global_load_dwordx4 v[32:35], v[40:41], off
	global_load_dwordx4 v[180:183], v[100:101], off offset:384
	v_mul_f64 v[78:79], v[6:7], v[108:109]
	v_mul_f64 v[80:81], v[4:5], v[108:109]
	v_mov_b32_e32 v184, v110
	v_mul_f64 v[82:83], v[10:11], v[112:113]
	v_mul_f64 v[84:85], v[8:9], v[112:113]
	s_waitcnt vmcnt(42)
	v_mul_f64 v[86:87], v[14:15], v[158:159]
	v_mul_f64 v[18:19], v[42:43], v[132:133]
	;; [unrolled: 1-line block ×9, first 2 shown]
	v_fma_f64 v[18:19], v[44:45], v[130:131], -v[18:19]
	v_or_b32_e32 v44, 0x780, v192
	v_mad_u64_u32 v[38:39], s[16:17], s12, v44, 0
	v_fma_f64 v[16:17], v[42:43], v[130:131], v[16:17]
	v_fma_f64 v[22:23], v[48:49], v[134:135], -v[22:23]
	v_mad_u64_u32 v[42:43], s[16:17], s13, v44, v[39:40]
	v_mov_b32_e32 v43, v44
	s_mulk_i32 s13, 0x2d00
	v_mov_b32_e32 v39, v42
	v_mov_b32_e32 v42, 0x2d00
	v_mad_u64_u32 v[44:45], s[16:17], s12, v42, v[40:41]
	v_lshlrev_b64 v[38:39], 4, v[38:39]
	buffer_store_dword v43, off, s[44:47], 0 offset:16 ; 4-byte Folded Spill
	v_add_co_u32_e32 v36, vcc, v36, v38
	v_addc_co_u32_e32 v37, vcc, v37, v39, vcc
	v_lshlrev_b32_e32 v167, 4, v43
	global_load_dwordx4 v[176:179], v167, s[8:9]
	v_add_u32_e32 v45, s13, v45
	global_load_dwordx4 v[36:39], v[36:37], off
	s_nop 0
	global_load_dwordx4 v[40:43], v[44:45], off
	global_load_dwordx4 v[168:171], v[62:63], off offset:3712
	v_add_co_u32_e32 v48, vcc, s7, v44
	v_mov_b32_e32 v44, s6
	v_addc_co_u32_e32 v49, vcc, v45, v44, vcc
	v_add_co_u32_e32 v90, vcc, s33, v57
	v_addc_co_u32_e32 v91, vcc, 0, v56, vcc
	v_fma_f64 v[20:21], v[46:47], v[134:135], v[20:21]
	v_fma_f64 v[26:27], v[52:53], v[138:139], -v[26:27]
	global_load_dwordx4 v[44:47], v[48:49], off
	v_add_co_u32_e32 v52, vcc, s7, v48
	v_mov_b32_e32 v48, s6
	v_addc_co_u32_e32 v53, vcc, v49, v48, vcc
	v_fma_f64 v[24:25], v[50:51], v[138:139], v[24:25]
	v_fma_f64 v[28:29], v[58:59], v[102:103], v[28:29]
	global_load_dwordx4 v[172:175], v[90:91], off offset:1280
	global_load_dwordx4 v[48:51], v[52:53], off
	global_load_dwordx4 v[160:163], v[88:89], off offset:2944
	v_add_co_u32_e32 v58, vcc, s7, v52
	v_mov_b32_e32 v52, s6
	v_addc_co_u32_e32 v59, vcc, v53, v52, vcc
	v_fma_f64 v[30:31], v[60:61], v[102:103], -v[30:31]
	v_mad_u64_u32 v[60:61], s[12:13], s12, v92, v[58:59]
	v_add_co_u32_e32 v88, vcc, s34, v57
	v_addc_co_u32_e32 v89, vcc, 0, v56, vcc
	v_add_u32_e32 v61, s14, v61
	global_load_dwordx4 v[52:55], v[58:59], off
	global_load_dwordx4 v[124:127], v[88:89], off offset:512
	s_nop 0
	global_load_dwordx4 v[56:59], v[60:61], off
	global_load_dwordx4 v[116:119], v164, s[8:9] offset:3840
	v_add_co_u32_e32 v92, vcc, s7, v60
	v_mov_b32_e32 v60, s6
	v_addc_co_u32_e32 v93, vcc, v61, v60, vcc
	global_load_dwordx4 v[60:63], v[92:93], off
	global_load_dwordx4 v[152:155], v[70:71], off offset:1408
	v_add_co_u32_e32 v70, vcc, s7, v92
	v_mov_b32_e32 v71, s6
	v_addc_co_u32_e32 v71, vcc, v93, v71, vcc
	global_load_dwordx4 v[92:95], v[70:71], off
	global_load_dwordx4 v[148:151], v[96:97], off offset:3072
	;; [unrolled: 5-line block ×8, first 2 shown]
	v_add_co_u32_e32 v68, vcc, s7, v90
	v_mov_b32_e32 v69, s6
	v_addc_co_u32_e32 v69, vcc, v91, v69, vcc
	global_load_dwordx4 v[112:115], v[68:69], off
	s_nop 0
	global_load_dwordx4 v[88:91], v[88:89], off offset:2432
	s_nop 0
	buffer_store_dword v156, off, s[44:47], 0 offset:412 ; 4-byte Folded Spill
	s_nop 0
	buffer_store_dword v157, off, s[44:47], 0 offset:416 ; 4-byte Folded Spill
	buffer_store_dword v158, off, s[44:47], 0 offset:420 ; 4-byte Folded Spill
	buffer_store_dword v159, off, s[44:47], 0 offset:424 ; 4-byte Folded Spill
	buffer_store_dword v193, off, s[44:47], 0 offset:476 ; 4-byte Folded Spill
	s_nop 0
	buffer_store_dword v194, off, s[44:47], 0 offset:480 ; 4-byte Folded Spill
	buffer_store_dword v195, off, s[44:47], 0 offset:484 ; 4-byte Folded Spill
	buffer_store_dword v196, off, s[44:47], 0 offset:488 ; 4-byte Folded Spill
	;; [unrolled: 5-line block ×4, first 2 shown]
	s_mov_b32 s6, 0x134454ff
	s_mov_b32 s7, 0x3fee6f0e
	;; [unrolled: 1-line block ×11, first 2 shown]
	v_mul_f64 v[68:69], v[12:13], v[158:159]
	v_fma_f64 v[0:1], v[0:1], v[193:194], v[74:75]
	v_fma_f64 v[2:3], v[2:3], v[193:194], -v[76:77]
	v_fma_f64 v[4:5], v[4:5], v[188:189], v[78:79]
	v_fma_f64 v[6:7], v[6:7], v[188:189], -v[80:81]
	;; [unrolled: 2-line block ×4, first 2 shown]
	ds_write_b128 v164, v[16:19] offset:34560
	ds_write_b128 v164, v[20:23] offset:40320
	;; [unrolled: 1-line block ×8, first 2 shown]
	s_waitcnt vmcnt(47)
	buffer_store_dword v180, off, s[44:47], 0 offset:428 ; 4-byte Folded Spill
	s_nop 0
	buffer_store_dword v181, off, s[44:47], 0 offset:432 ; 4-byte Folded Spill
	buffer_store_dword v182, off, s[44:47], 0 offset:436 ; 4-byte Folded Spill
	buffer_store_dword v183, off, s[44:47], 0 offset:440 ; 4-byte Folded Spill
	s_waitcnt vmcnt(49)
	buffer_store_dword v176, off, s[44:47], 0 offset:396 ; 4-byte Folded Spill
	s_nop 0
	buffer_store_dword v177, off, s[44:47], 0 offset:400 ; 4-byte Folded Spill
	buffer_store_dword v178, off, s[44:47], 0 offset:404 ; 4-byte Folded Spill
	buffer_store_dword v179, off, s[44:47], 0 offset:408 ; 4-byte Folded Spill
	;; [unrolled: 6-line block ×8, first 2 shown]
	v_mul_f64 v[0:1], v[34:35], v[182:183]
	v_mul_f64 v[2:3], v[32:33], v[182:183]
	;; [unrolled: 1-line block ×16, first 2 shown]
	v_fma_f64 v[0:1], v[32:33], v[180:181], v[0:1]
	v_fma_f64 v[2:3], v[34:35], v[180:181], -v[2:3]
	v_fma_f64 v[4:5], v[36:37], v[176:177], v[4:5]
	v_fma_f64 v[6:7], v[38:39], v[176:177], -v[6:7]
	;; [unrolled: 2-line block ×8, first 2 shown]
	ds_write_b128 v164, v[0:3] offset:24960
	ds_write_b128 v164, v[4:7] offset:30720
	;; [unrolled: 1-line block ×8, first 2 shown]
	s_waitcnt vmcnt(62)
	buffer_store_dword v148, off, s[44:47], 0 offset:156 ; 4-byte Folded Spill
	s_nop 0
	buffer_store_dword v149, off, s[44:47], 0 offset:160 ; 4-byte Folded Spill
	buffer_store_dword v150, off, s[44:47], 0 offset:164 ; 4-byte Folded Spill
	;; [unrolled: 1-line block ×3, first 2 shown]
	s_waitcnt vmcnt(62)
	buffer_store_dword v136, off, s[44:47], 0 offset:124 ; 4-byte Folded Spill
	s_nop 0
	buffer_store_dword v137, off, s[44:47], 0 offset:128 ; 4-byte Folded Spill
	buffer_store_dword v138, off, s[44:47], 0 offset:132 ; 4-byte Folded Spill
	;; [unrolled: 1-line block ×4, first 2 shown]
	s_nop 0
	buffer_store_dword v133, off, s[44:47], 0 offset:96 ; 4-byte Folded Spill
	buffer_store_dword v134, off, s[44:47], 0 offset:100 ; 4-byte Folded Spill
	;; [unrolled: 1-line block ×3, first 2 shown]
	s_waitcnt vmcnt(62)
	buffer_store_dword v128, off, s[44:47], 0 offset:60 ; 4-byte Folded Spill
	s_nop 0
	buffer_store_dword v129, off, s[44:47], 0 offset:64 ; 4-byte Folded Spill
	buffer_store_dword v130, off, s[44:47], 0 offset:68 ; 4-byte Folded Spill
	;; [unrolled: 1-line block ×3, first 2 shown]
	s_waitcnt vmcnt(62)
	buffer_store_dword v88, off, s[44:47], 0 ; 4-byte Folded Spill
	s_nop 0
	buffer_store_dword v89, off, s[44:47], 0 offset:4 ; 4-byte Folded Spill
	buffer_store_dword v90, off, s[44:47], 0 offset:8 ; 4-byte Folded Spill
	buffer_store_dword v91, off, s[44:47], 0 offset:12 ; 4-byte Folded Spill
	v_mul_f64 v[16:17], v[106:107], v[146:147]
	v_mul_f64 v[18:19], v[104:105], v[146:147]
	buffer_store_dword v144, off, s[44:47], 0 offset:76 ; 4-byte Folded Spill
	s_nop 0
	buffer_store_dword v145, off, s[44:47], 0 offset:80 ; 4-byte Folded Spill
	buffer_store_dword v146, off, s[44:47], 0 offset:84 ; 4-byte Folded Spill
	buffer_store_dword v147, off, s[44:47], 0 offset:88 ; 4-byte Folded Spill
	v_mul_f64 v[20:21], v[66:67], v[142:143]
	v_mul_f64 v[22:23], v[64:65], v[142:143]
	buffer_store_dword v140, off, s[44:47], 0 offset:44 ; 4-byte Folded Spill
	;; [unrolled: 7-line block ×3, first 2 shown]
	s_nop 0
	buffer_store_dword v121, off, s[44:47], 0 offset:24 ; 4-byte Folded Spill
	buffer_store_dword v122, off, s[44:47], 0 offset:28 ; 4-byte Folded Spill
	;; [unrolled: 1-line block ×3, first 2 shown]
	v_mul_f64 v[0:1], v[94:95], v[150:151]
	v_mul_f64 v[2:3], v[92:93], v[150:151]
	;; [unrolled: 1-line block ×10, first 2 shown]
	v_fma_f64 v[0:1], v[92:93], v[148:149], v[0:1]
	v_fma_f64 v[2:3], v[94:95], v[148:149], -v[2:3]
	v_fma_f64 v[4:5], v[96:97], v[136:137], v[4:5]
	v_fma_f64 v[6:7], v[98:99], v[136:137], -v[6:7]
	;; [unrolled: 2-line block ×8, first 2 shown]
	ds_write_b128 v164, v[0:3] offset:15360
	ds_write_b128 v164, v[4:7] offset:21120
	;; [unrolled: 1-line block ×8, first 2 shown]
	s_waitcnt vmcnt(0) lgkmcnt(0)
	s_barrier
	ds_read_b128 v[44:47], v164
	ds_read_b128 v[24:27], v164 offset:5760
	ds_read_b128 v[32:35], v164 offset:11520
	;; [unrolled: 1-line block ×10, first 2 shown]
	s_waitcnt lgkmcnt(4)
	v_add_f64 v[0:1], v[36:37], v[40:41]
	v_add_f64 v[2:3], v[44:45], v[32:33]
	s_waitcnt lgkmcnt(2)
	v_add_f64 v[90:91], v[34:35], -v[30:31]
	v_add_f64 v[100:101], v[32:33], v[28:29]
	v_add_f64 v[96:97], v[38:39], -v[42:43]
	v_add_f64 v[98:99], v[32:33], -v[36:37]
	;; [unrolled: 1-line block ×4, first 2 shown]
	v_fma_f64 v[88:89], v[0:1], -0.5, v[44:45]
	v_add_f64 v[106:107], v[40:41], -v[28:29]
	v_add_f64 v[92:93], v[2:3], v[36:37]
	v_fma_f64 v[44:45], v[100:101], -0.5, v[44:45]
	v_add_f64 v[100:101], v[38:39], v[42:43]
	v_add_f64 v[32:33], v[32:33], -v[28:29]
	v_add_f64 v[98:99], v[98:99], v[102:103]
	v_add_f64 v[36:37], v[36:37], -v[40:41]
	v_fma_f64 v[94:95], v[90:91], s[6:7], v[88:89]
	v_fma_f64 v[88:89], v[90:91], s[12:13], v[88:89]
	v_add_f64 v[92:93], v[92:93], v[40:41]
	v_fma_f64 v[102:103], v[96:97], s[12:13], v[44:45]
	v_fma_f64 v[44:45], v[96:97], s[6:7], v[44:45]
	v_fma_f64 v[100:101], v[100:101], -0.5, v[46:47]
	v_add_f64 v[40:41], v[34:35], -v[38:39]
	s_waitcnt lgkmcnt(1)
	v_add_f64 v[108:109], v[12:13], -v[4:5]
	v_fma_f64 v[94:95], v[96:97], s[8:9], v[94:95]
	v_fma_f64 v[88:89], v[96:97], s[16:17], v[88:89]
	v_add_f64 v[96:97], v[46:47], v[34:35]
	v_add_f64 v[28:29], v[92:93], v[28:29]
	v_fma_f64 v[44:45], v[90:91], s[16:17], v[44:45]
	v_add_f64 v[110:111], v[16:17], -v[8:9]
	ds_read_b128 v[68:71], v164 offset:7680
	ds_read_b128 v[72:75], v164 offset:13440
	;; [unrolled: 1-line block ×6, first 2 shown]
	v_fma_f64 v[94:95], v[98:99], s[14:15], v[94:95]
	v_fma_f64 v[88:89], v[98:99], s[14:15], v[88:89]
	;; [unrolled: 1-line block ×3, first 2 shown]
	v_add_f64 v[102:103], v[104:105], v[106:107]
	v_add_f64 v[104:105], v[34:35], v[30:31]
	;; [unrolled: 1-line block ×3, first 2 shown]
	v_fma_f64 v[96:97], v[32:33], s[12:13], v[100:101]
	v_add_f64 v[106:107], v[30:31], -v[42:43]
	v_fma_f64 v[100:101], v[32:33], s[6:7], v[100:101]
	v_add_f64 v[34:35], v[38:39], -v[34:35]
	v_add_f64 v[38:39], v[24:25], v[12:13]
	v_fma_f64 v[92:93], v[102:103], s[14:15], v[98:99]
	v_fma_f64 v[46:47], v[104:105], -0.5, v[46:47]
	v_fma_f64 v[98:99], v[102:103], s[14:15], v[44:45]
	v_add_f64 v[44:45], v[90:91], v[42:43]
	v_fma_f64 v[90:91], v[36:37], s[16:17], v[96:97]
	v_add_f64 v[96:97], v[16:17], v[8:9]
	v_add_f64 v[42:43], v[42:43], -v[30:31]
	v_add_f64 v[40:41], v[40:41], v[106:107]
	v_add_f64 v[104:105], v[14:15], -v[6:7]
	v_fma_f64 v[102:103], v[36:37], s[6:7], v[46:47]
	v_fma_f64 v[46:47], v[36:37], s[12:13], v[46:47]
	v_add_f64 v[30:31], v[44:45], v[30:31]
	v_fma_f64 v[36:37], v[36:37], s[8:9], v[100:101]
	v_fma_f64 v[96:97], v[96:97], -0.5, v[24:25]
	v_add_f64 v[34:35], v[34:35], v[42:43]
	v_add_f64 v[100:101], v[12:13], -v[16:17]
	v_fma_f64 v[90:91], v[40:41], s[14:15], v[90:91]
	v_fma_f64 v[44:45], v[32:33], s[16:17], v[102:103]
	;; [unrolled: 1-line block ×3, first 2 shown]
	v_add_f64 v[46:47], v[18:19], -v[10:11]
	v_add_f64 v[102:103], v[4:5], -v[8:9]
	v_fma_f64 v[42:43], v[104:105], s[6:7], v[96:97]
	v_fma_f64 v[106:107], v[40:41], s[14:15], v[36:37]
	;; [unrolled: 1-line block ×3, first 2 shown]
	v_add_f64 v[38:39], v[38:39], v[16:17]
	v_fma_f64 v[96:97], v[34:35], s[14:15], v[44:45]
	v_fma_f64 v[34:35], v[34:35], s[14:15], v[32:33]
	v_add_f64 v[32:33], v[18:19], v[10:11]
	v_add_f64 v[44:45], v[14:15], v[6:7]
	v_fma_f64 v[40:41], v[46:47], s[8:9], v[42:43]
	v_add_f64 v[42:43], v[100:101], v[102:103]
	v_fma_f64 v[36:37], v[46:47], s[16:17], v[36:37]
	v_add_f64 v[100:101], v[12:13], v[4:5]
	v_add_f64 v[102:103], v[26:27], v[14:15]
	;; [unrolled: 1-line block ×3, first 2 shown]
	v_fma_f64 v[32:33], v[32:33], -0.5, v[26:27]
	v_fma_f64 v[26:27], v[44:45], -0.5, v[26:27]
	v_add_f64 v[12:13], v[16:17], -v[12:13]
	v_fma_f64 v[40:41], v[42:43], s[14:15], v[40:41]
	v_fma_f64 v[36:37], v[42:43], s[14:15], v[36:37]
	v_fma_f64 v[24:25], v[100:101], -0.5, v[24:25]
	v_add_f64 v[16:17], v[102:103], v[18:19]
	v_add_f64 v[44:45], v[14:15], -v[18:19]
	v_fma_f64 v[42:43], v[108:109], s[12:13], v[32:33]
	v_add_f64 v[100:101], v[6:7], -v[10:11]
	v_fma_f64 v[102:103], v[110:111], s[6:7], v[26:27]
	v_add_f64 v[14:15], v[18:19], -v[14:15]
	v_add_f64 v[18:19], v[10:11], -v[6:7]
	v_add_f64 v[38:39], v[38:39], v[4:5]
	v_fma_f64 v[112:113], v[46:47], s[12:13], v[24:25]
	v_add_f64 v[4:5], v[8:9], -v[4:5]
	v_fma_f64 v[8:9], v[46:47], s[6:7], v[24:25]
	v_fma_f64 v[24:25], v[110:111], s[16:17], v[42:43]
	v_add_f64 v[42:43], v[44:45], v[100:101]
	v_fma_f64 v[32:33], v[108:109], s[6:7], v[32:33]
	v_fma_f64 v[44:45], v[108:109], s[16:17], v[102:103]
	v_add_f64 v[14:15], v[14:15], v[18:19]
	;; [unrolled: 3-line block ×3, first 2 shown]
	v_add_f64 v[10:11], v[16:17], v[10:11]
	v_fma_f64 v[8:9], v[104:105], s[16:17], v[8:9]
	v_fma_f64 v[12:13], v[110:111], s[8:9], v[32:33]
	;; [unrolled: 1-line block ×5, first 2 shown]
	v_mul_f64 v[18:19], v[40:41], s[22:23]
	v_fma_f64 v[26:27], v[4:5], s[14:15], v[26:27]
	v_add_f64 v[46:47], v[10:11], v[6:7]
	v_fma_f64 v[8:9], v[4:5], s[14:15], v[8:9]
	v_fma_f64 v[6:7], v[42:43], s[14:15], v[12:13]
	v_mul_f64 v[40:41], v[40:41], s[16:17]
	v_mul_f64 v[12:13], v[32:33], s[6:7]
	v_fma_f64 v[10:11], v[14:15], s[14:15], v[16:17]
	v_fma_f64 v[42:43], v[24:25], s[8:9], v[18:19]
	v_mul_f64 v[18:19], v[36:37], s[18:19]
	ds_read_b128 v[52:55], v164 offset:42240
	ds_read_b128 v[84:87], v164 offset:48000
	v_mul_f64 v[14:15], v[8:9], s[20:21]
	v_add_f64 v[4:5], v[28:29], v[38:39]
	v_mul_f64 v[102:103], v[6:7], s[18:19]
	v_fma_f64 v[100:101], v[26:27], s[14:15], v[12:13]
	v_mul_f64 v[26:27], v[26:27], s[12:13]
	v_mul_f64 v[44:45], v[10:11], s[20:21]
	v_fma_f64 v[108:109], v[6:7], s[8:9], v[18:19]
	v_fma_f64 v[110:111], v[24:25], s[22:23], v[40:41]
	;; [unrolled: 1-line block ×3, first 2 shown]
	v_add_f64 v[28:29], v[28:29], -v[38:39]
	s_waitcnt lgkmcnt(2)
	v_add_f64 v[116:117], v[80:81], v[76:77]
	v_add_f64 v[16:17], v[94:95], v[42:43]
	v_fma_f64 v[112:113], v[32:33], s[14:15], v[26:27]
	v_add_f64 v[32:33], v[56:57], v[72:73]
	v_add_f64 v[24:25], v[88:89], v[108:109]
	v_fma_f64 v[114:115], v[8:9], s[12:13], v[44:45]
	v_fma_f64 v[102:103], v[36:37], s[16:17], v[102:103]
	v_add_f64 v[8:9], v[98:99], v[104:105]
	v_add_f64 v[6:7], v[30:31], v[46:47]
	;; [unrolled: 1-line block ×3, first 2 shown]
	v_add_f64 v[44:45], v[94:95], -v[42:43]
	v_add_f64 v[38:39], v[32:33], v[80:81]
	v_add_f64 v[32:33], v[88:89], -v[108:109]
	s_waitcnt lgkmcnt(0)
	v_add_f64 v[88:89], v[72:73], v[84:85]
	v_add_f64 v[36:37], v[98:99], -v[104:105]
	v_add_f64 v[30:31], v[30:31], -v[46:47]
	v_fma_f64 v[94:95], v[116:117], -0.5, v[56:57]
	v_add_f64 v[98:99], v[74:75], -v[86:87]
	v_add_f64 v[46:47], v[90:91], -v[110:111]
	;; [unrolled: 1-line block ×3, first 2 shown]
	v_add_f64 v[12:13], v[92:93], v[100:101]
	v_fma_f64 v[56:57], v[88:89], -0.5, v[56:57]
	v_add_f64 v[40:41], v[92:93], -v[100:101]
	v_add_f64 v[92:93], v[38:39], v[76:77]
	v_add_f64 v[100:101], v[58:59], v[74:75]
	v_fma_f64 v[88:89], v[98:99], s[6:7], v[94:95]
	v_fma_f64 v[94:95], v[98:99], s[12:13], v[94:95]
	v_add_f64 v[14:15], v[96:97], v[112:113]
	v_add_f64 v[10:11], v[34:35], v[114:115]
	v_fma_f64 v[104:105], v[90:91], s[12:13], v[56:57]
	v_add_f64 v[26:27], v[106:107], v[102:103]
	v_add_f64 v[42:43], v[96:97], -v[112:113]
	v_add_f64 v[38:39], v[34:35], -v[114:115]
	v_add_f64 v[34:35], v[106:107], -v[102:103]
	v_add_f64 v[96:97], v[92:93], v[84:85]
	v_add_f64 v[92:93], v[72:73], -v[80:81]
	v_add_f64 v[102:103], v[84:85], -v[76:77]
	;; [unrolled: 1-line block ×4, first 2 shown]
	v_fma_f64 v[88:89], v[90:91], s[8:9], v[88:89]
	v_fma_f64 v[56:57], v[90:91], s[6:7], v[56:57]
	v_add_f64 v[100:101], v[100:101], v[82:83]
	v_add_f64 v[110:111], v[82:83], v[78:79]
	v_fma_f64 v[90:91], v[90:91], s[16:17], v[94:95]
	v_fma_f64 v[94:95], v[98:99], s[8:9], v[104:105]
	v_add_f64 v[104:105], v[74:75], v[86:87]
	v_add_f64 v[92:93], v[92:93], v[102:103]
	;; [unrolled: 1-line block ×3, first 2 shown]
	v_fma_f64 v[56:57], v[98:99], s[16:17], v[56:57]
	v_add_f64 v[98:99], v[100:101], v[78:79]
	v_fma_f64 v[100:101], v[110:111], -0.5, v[58:59]
	v_add_f64 v[72:73], v[72:73], -v[84:85]
	v_add_f64 v[76:77], v[80:81], -v[76:77]
	v_fma_f64 v[58:59], v[104:105], -0.5, v[58:59]
	v_fma_f64 v[84:85], v[92:93], s[14:15], v[88:89]
	v_fma_f64 v[106:107], v[92:93], s[14:15], v[90:91]
	;; [unrolled: 1-line block ×4, first 2 shown]
	v_add_f64 v[88:89], v[74:75], -v[82:83]
	v_fma_f64 v[56:57], v[72:73], s[12:13], v[100:101]
	v_add_f64 v[90:91], v[86:87], -v[78:79]
	v_fma_f64 v[92:93], v[72:73], s[6:7], v[100:101]
	v_fma_f64 v[94:95], v[76:77], s[6:7], v[58:59]
	v_add_f64 v[74:75], v[82:83], -v[74:75]
	v_add_f64 v[78:79], v[78:79], -v[86:87]
	v_fma_f64 v[58:59], v[76:77], s[12:13], v[58:59]
	v_add_f64 v[98:99], v[98:99], v[86:87]
	v_add_f64 v[82:83], v[60:61], v[52:53]
	v_fma_f64 v[56:57], v[76:77], s[16:17], v[56:57]
	v_add_f64 v[86:87], v[88:89], v[90:91]
	v_fma_f64 v[76:77], v[76:77], s[8:9], v[92:93]
	v_fma_f64 v[88:89], v[72:73], s[16:17], v[94:95]
	v_add_f64 v[74:75], v[74:75], v[78:79]
	v_fma_f64 v[58:59], v[72:73], s[8:9], v[58:59]
	ds_read_b128 v[48:51], v164 offset:53760
	ds_read_b128 v[0:3], v164 offset:3840
	v_fma_f64 v[72:73], v[82:83], -0.5, v[68:69]
	v_add_f64 v[108:109], v[62:63], v[54:55]
	v_fma_f64 v[82:83], v[86:87], s[14:15], v[56:57]
	s_waitcnt lgkmcnt(1)
	v_add_f64 v[90:91], v[64:65], v[48:49]
	v_add_f64 v[78:79], v[66:67], -v[50:51]
	v_fma_f64 v[100:101], v[86:87], s[14:15], v[76:77]
	v_fma_f64 v[86:87], v[74:75], s[14:15], v[88:89]
	;; [unrolled: 1-line block ×3, first 2 shown]
	v_add_f64 v[74:75], v[64:65], -v[60:61]
	v_add_f64 v[88:89], v[48:49], -v[52:53]
	;; [unrolled: 1-line block ×3, first 2 shown]
	v_fma_f64 v[76:77], v[90:91], -0.5, v[68:69]
	v_add_f64 v[58:59], v[68:69], v[64:65]
	v_fma_f64 v[68:69], v[78:79], s[6:7], v[72:73]
	v_fma_f64 v[72:73], v[78:79], s[12:13], v[72:73]
	v_add_f64 v[92:93], v[60:61], -v[64:65]
	v_add_f64 v[94:95], v[52:53], -v[48:49]
	v_add_f64 v[74:75], v[74:75], v[88:89]
	v_add_f64 v[88:89], v[66:67], v[50:51]
	v_fma_f64 v[90:91], v[56:57], s[12:13], v[76:77]
	v_add_f64 v[58:59], v[58:59], v[60:61]
	v_fma_f64 v[68:69], v[56:57], s[8:9], v[68:69]
	v_fma_f64 v[72:73], v[56:57], s[16:17], v[72:73]
	;; [unrolled: 1-line block ×3, first 2 shown]
	v_add_f64 v[76:77], v[70:71], v[66:67]
	v_fma_f64 v[108:109], v[108:109], -0.5, v[70:71]
	v_add_f64 v[64:65], v[64:65], -v[48:49]
	v_add_f64 v[60:61], v[60:61], -v[52:53]
	v_fma_f64 v[70:71], v[88:89], -0.5, v[70:71]
	v_add_f64 v[112:113], v[92:93], v[94:95]
	v_add_f64 v[92:93], v[66:67], -v[62:63]
	v_add_f64 v[94:95], v[50:51], -v[54:55]
	;; [unrolled: 1-line block ×4, first 2 shown]
	v_add_f64 v[52:53], v[58:59], v[52:53]
	v_add_f64 v[58:59], v[76:77], v[62:63]
	v_fma_f64 v[62:63], v[60:61], s[6:7], v[70:71]
	v_fma_f64 v[76:77], v[64:65], s[12:13], v[108:109]
	;; [unrolled: 1-line block ×6, first 2 shown]
	v_add_f64 v[78:79], v[92:93], v[94:95]
	v_add_f64 v[66:67], v[66:67], v[114:115]
	;; [unrolled: 1-line block ×3, first 2 shown]
	v_fma_f64 v[48:49], v[64:65], s[16:17], v[62:63]
	v_fma_f64 v[62:63], v[74:75], s[14:15], v[68:69]
	v_fma_f64 v[68:69], v[60:61], s[16:17], v[76:77]
	v_add_f64 v[54:55], v[58:59], v[54:55]
	v_fma_f64 v[58:59], v[60:61], s[8:9], v[108:109]
	v_fma_f64 v[60:61], v[64:65], s[8:9], v[70:71]
	;; [unrolled: 1-line block ×7, first 2 shown]
	v_add_f64 v[54:55], v[54:55], v[50:51]
	v_fma_f64 v[50:51], v[78:79], s[14:15], v[58:59]
	v_fma_f64 v[58:59], v[66:67], s[14:15], v[60:61]
	v_mul_f64 v[72:73], v[62:63], s[22:23]
	v_mul_f64 v[76:77], v[74:75], s[18:19]
	;; [unrolled: 1-line block ×4, first 2 shown]
	ds_read_b128 v[20:23], v164 offset:15360
	v_mul_f64 v[60:61], v[70:71], s[6:7]
	v_mul_f64 v[66:67], v[56:57], s[20:21]
	;; [unrolled: 1-line block ×4, first 2 shown]
	v_add_f64 v[48:49], v[96:97], v[52:53]
	v_fma_f64 v[108:109], v[68:69], s[8:9], v[72:73]
	v_fma_f64 v[118:119], v[50:51], s[8:9], v[76:77]
	v_fma_f64 v[62:63], v[68:69], s[22:23], v[62:63]
	v_fma_f64 v[120:121], v[70:71], s[14:15], v[78:79]
	v_add_f64 v[50:51], v[98:99], v[54:55]
	v_add_f64 v[68:69], v[96:97], -v[52:53]
	v_add_f64 v[70:71], v[98:99], -v[54:55]
	s_waitcnt lgkmcnt(0)
	v_add_f64 v[96:97], v[0:1], v[20:21]
	v_add_f64 v[98:99], v[2:3], v[22:23]
	ds_read_b128 v[88:91], v164 offset:26880
	v_fma_f64 v[114:115], v[64:65], s[14:15], v[60:61]
	v_fma_f64 v[116:117], v[58:59], s[6:7], v[66:67]
	;; [unrolled: 1-line block ×4, first 2 shown]
	ds_read_b128 v[92:95], v164 offset:38400
	s_waitcnt lgkmcnt(1)
	v_add_f64 v[96:97], v[96:97], v[88:89]
	v_add_f64 v[98:99], v[98:99], v[90:91]
	;; [unrolled: 1-line block ×10, first 2 shown]
	v_add_f64 v[60:61], v[84:85], -v[108:109]
	v_add_f64 v[52:53], v[80:81], -v[114:115]
	;; [unrolled: 1-line block ×8, first 2 shown]
	s_waitcnt lgkmcnt(0)
	v_add_f64 v[100:101], v[88:89], v[92:93]
	v_add_f64 v[112:113], v[90:91], -v[94:95]
	v_add_f64 v[102:103], v[20:21], -v[88:89]
	;; [unrolled: 1-line block ×3, first 2 shown]
	v_add_f64 v[106:107], v[90:91], v[94:95]
	v_add_f64 v[114:115], v[88:89], -v[92:93]
	v_add_f64 v[108:109], v[22:23], -v[90:91]
	;; [unrolled: 1-line block ×3, first 2 shown]
	ds_read_b128 v[88:91], v164 offset:49920
	v_fma_f64 v[165:166], v[106:107], -0.5, v[2:3]
	s_waitcnt lgkmcnt(0)
	v_add_f64 v[116:117], v[22:23], -v[90:91]
	v_add_f64 v[118:119], v[20:21], v[88:89]
	v_add_f64 v[120:121], v[20:21], -v[88:89]
	v_add_f64 v[122:123], v[22:23], v[90:91]
	v_add_f64 v[20:21], v[96:97], v[92:93]
	;; [unrolled: 1-line block ×3, first 2 shown]
	v_add_f64 v[124:125], v[88:89], -v[92:93]
	v_add_f64 v[126:127], v[92:93], -v[88:89]
	;; [unrolled: 1-line block ×4, first 2 shown]
	v_fma_f64 v[118:119], v[118:119], -0.5, v[0:1]
	v_fma_f64 v[106:107], v[122:123], -0.5, v[2:3]
	v_add_f64 v[132:133], v[20:21], v[88:89]
	v_add_f64 v[134:135], v[22:23], v[90:91]
	ds_read_b128 v[20:23], v164 offset:9600
	ds_read_b128 v[88:91], v164 offset:21120
	;; [unrolled: 1-line block ×3, first 2 shown]
	v_add_f64 v[128:129], v[108:109], v[128:129]
	v_add_f64 v[108:109], v[110:111], v[130:131]
	;; [unrolled: 1-line block ×3, first 2 shown]
	s_waitcnt lgkmcnt(1)
	v_add_f64 v[96:97], v[20:21], v[88:89]
	s_waitcnt lgkmcnt(0)
	v_add_f64 v[144:145], v[88:89], -v[92:93]
	v_add_f64 v[146:147], v[92:93], -v[88:89]
	;; [unrolled: 1-line block ×4, first 2 shown]
	v_add_f64 v[104:105], v[104:105], v[126:127]
	v_add_f64 v[136:137], v[96:97], v[92:93]
	;; [unrolled: 1-line block ×4, first 2 shown]
	ds_read_b128 v[96:99], v164 offset:44160
	s_waitcnt lgkmcnt(0)
	v_add_f64 v[140:141], v[92:93], v[96:97]
	v_add_f64 v[142:143], v[94:95], -v[98:99]
	v_add_f64 v[148:149], v[94:95], v[98:99]
	v_add_f64 v[150:151], v[92:93], -v[96:97]
	ds_read_b128 v[92:95], v164 offset:55680
	s_waitcnt lgkmcnt(0)
	s_barrier
	v_fma_f64 v[122:123], v[140:141], -0.5, v[20:21]
	v_add_f64 v[156:157], v[90:91], -v[94:95]
	v_add_f64 v[158:159], v[88:89], v[92:93]
	v_add_f64 v[160:161], v[88:89], -v[92:93]
	v_add_f64 v[88:89], v[90:91], v[94:95]
	v_add_f64 v[90:91], v[136:137], v[96:97]
	;; [unrolled: 1-line block ×3, first 2 shown]
	v_add_f64 v[138:139], v[92:93], -v[96:97]
	v_fma_f64 v[148:149], v[148:149], -0.5, v[22:23]
	v_add_f64 v[96:97], v[96:97], -v[92:93]
	v_fma_f64 v[140:141], v[158:159], -0.5, v[20:21]
	v_add_f64 v[162:163], v[94:95], -v[98:99]
	v_fma_f64 v[158:159], v[88:89], -0.5, v[22:23]
	v_add_f64 v[90:91], v[90:91], v[92:93]
	v_fma_f64 v[88:89], v[156:157], s[6:7], v[122:123]
	v_add_f64 v[92:93], v[136:137], v[94:95]
	v_fma_f64 v[136:137], v[100:101], -0.5, v[0:1]
	v_add_f64 v[98:99], v[98:99], -v[94:95]
	v_add_f64 v[110:111], v[146:147], v[96:97]
	v_fma_f64 v[96:97], v[150:151], s[6:7], v[158:159]
	v_add_f64 v[0:1], v[132:133], v[90:91]
	v_add_f64 v[20:21], v[132:133], -v[90:91]
	v_add_f64 v[132:133], v[144:145], v[138:139]
	v_fma_f64 v[88:89], v[142:143], s[8:9], v[88:89]
	v_fma_f64 v[90:91], v[160:161], s[12:13], v[148:149]
	v_add_f64 v[2:3], v[134:135], v[92:93]
	v_add_f64 v[22:23], v[134:135], -v[92:93]
	v_add_f64 v[134:135], v[152:153], v[162:163]
	v_add_f64 v[126:127], v[154:155], v[98:99]
	v_fma_f64 v[96:97], v[160:161], s[16:17], v[96:97]
	v_fma_f64 v[98:99], v[142:143], s[12:13], v[140:141]
	v_fma_f64 v[88:89], v[132:133], s[14:15], v[88:89]
	v_fma_f64 v[90:91], v[150:151], s[16:17], v[90:91]
	v_fma_f64 v[96:97], v[126:127], s[14:15], v[96:97]
	v_fma_f64 v[98:99], v[156:157], s[8:9], v[98:99]
	v_mul_f64 v[92:93], v[88:89], s[22:23]
	v_fma_f64 v[90:91], v[134:135], s[14:15], v[90:91]
	v_mul_f64 v[88:89], v[88:89], s[16:17]
	v_fma_f64 v[98:99], v[110:111], s[14:15], v[98:99]
	v_fma_f64 v[92:93], v[90:91], s[8:9], v[92:93]
	;; [unrolled: 1-line block ×9, first 2 shown]
	v_add_f64 v[88:89], v[100:101], v[92:93]
	v_add_f64 v[92:93], v[100:101], -v[92:93]
	v_mul_f64 v[100:101], v[96:97], s[6:7]
	v_add_f64 v[90:91], v[102:103], v[94:95]
	v_add_f64 v[94:95], v[102:103], -v[94:95]
	v_fma_f64 v[100:101], v[98:99], s[14:15], v[100:101]
	v_mul_f64 v[98:99], v[98:99], s[12:13]
	v_fma_f64 v[102:103], v[96:97], s[14:15], v[98:99]
	v_fma_f64 v[96:97], v[112:113], s[12:13], v[118:119]
	v_fma_f64 v[118:119], v[112:113], s[6:7], v[118:119]
	v_fma_f64 v[98:99], v[114:115], s[6:7], v[106:107]
	v_fma_f64 v[96:97], v[116:117], s[8:9], v[96:97]
	v_fma_f64 v[118:119], v[116:117], s[16:17], v[118:119]
	v_fma_f64 v[98:99], v[120:121], s[16:17], v[98:99]
	v_fma_f64 v[116:117], v[116:117], s[12:13], v[136:137]
	v_fma_f64 v[130:131], v[104:105], s[14:15], v[96:97]
	v_fma_f64 v[118:119], v[104:105], s[14:15], v[118:119]
	v_fma_f64 v[104:105], v[114:115], s[12:13], v[106:107]
	v_fma_f64 v[106:107], v[150:151], s[12:13], v[158:159]
	v_fma_f64 v[138:139], v[108:109], s[14:15], v[98:99]
	v_fma_f64 v[112:113], v[112:113], s[16:17], v[116:117]
	v_add_f64 v[96:97], v[130:131], v[100:101]
	v_add_f64 v[100:101], v[130:131], -v[100:101]
	v_fma_f64 v[104:105], v[120:121], s[8:9], v[104:105]
	v_fma_f64 v[106:107], v[160:161], s[8:9], v[106:107]
	;; [unrolled: 1-line block ×3, first 2 shown]
	v_add_f64 v[98:99], v[138:139], v[102:103]
	v_add_f64 v[102:103], v[138:139], -v[102:103]
	v_fma_f64 v[130:131], v[108:109], s[14:15], v[104:105]
	v_fma_f64 v[104:105], v[142:143], s[6:7], v[140:141]
	;; [unrolled: 1-line block ×7, first 2 shown]
	v_mul_f64 v[108:109], v[104:105], s[20:21]
	v_fma_f64 v[108:109], v[106:107], s[6:7], v[108:109]
	v_mul_f64 v[106:107], v[106:107], s[20:21]
	v_fma_f64 v[110:111], v[104:105], s[12:13], v[106:107]
	v_add_f64 v[104:105], v[118:119], v[108:109]
	v_add_f64 v[108:109], v[118:119], -v[108:109]
	v_fma_f64 v[118:119], v[156:157], s[12:13], v[122:123]
	v_fma_f64 v[122:123], v[160:161], s[6:7], v[148:149]
	v_add_f64 v[106:107], v[130:131], v[110:111]
	v_add_f64 v[110:111], v[130:131], -v[110:111]
	v_fma_f64 v[118:119], v[142:143], s[16:17], v[118:119]
	v_fma_f64 v[116:117], v[150:151], s[8:9], v[122:123]
	;; [unrolled: 1-line block ×5, first 2 shown]
	v_add_co_u32_e32 v134, vcc, s24, v192
	s_movk_i32 s24, 0xf0
	v_add_co_u32_e32 v133, vcc, s24, v192
	v_mov_b32_e32 v135, s11
	v_mul_f64 v[114:115], v[118:119], s[18:19]
	v_fma_f64 v[116:117], v[112:113], s[8:9], v[114:115]
	v_mul_f64 v[112:113], v[112:113], s[18:19]
	v_fma_f64 v[118:119], v[118:119], s[16:17], v[112:113]
	v_add_f64 v[112:113], v[120:121], v[116:117]
	v_add_f64 v[116:117], v[120:121], -v[116:117]
	v_mul_lo_u16_e32 v120, 10, v192
	v_lshlrev_b32_e32 v150, 4, v120
	ds_write_b128 v150, v[4:7]
	ds_write_b128 v150, v[16:19] offset:16
	v_mul_u32_u24_e32 v4, 10, v134
	v_lshlrev_b32_e32 v132, 4, v4
	v_add_f64 v[114:115], v[122:123], v[118:119]
	v_mul_u32_u24_e32 v4, 10, v133
	v_lshlrev_b32_e32 v166, 4, v4
	v_add_f64 v[118:119], v[122:123], -v[118:119]
	ds_write_b128 v150, v[12:15] offset:32
	ds_write_b128 v150, v[8:11] offset:48
	;; [unrolled: 1-line block ×8, first 2 shown]
	ds_write_b128 v132, v[48:51]
	ds_write_b128 v132, v[72:75] offset:16
	ds_write_b128 v132, v[76:79] offset:32
	;; [unrolled: 1-line block ×9, first 2 shown]
	ds_write_b128 v166, v[0:3]
	ds_write_b128 v166, v[88:91] offset:16
	ds_write_b128 v166, v[96:99] offset:32
	;; [unrolled: 1-line block ×9, first 2 shown]
	v_mul_lo_u16_sdwa v0, v192, s42 dst_sel:DWORD dst_unused:UNUSED_PAD src0_sel:BYTE_0 src1_sel:DWORD
	v_lshrrev_b16_e32 v136, 11, v0
	v_mul_lo_u16_e32 v0, 10, v136
	v_sub_u16_e32 v0, v192, v0
	v_mov_b32_e32 v81, s11
	v_and_b32_e32 v137, 0xff, v0
	v_mov_b32_e32 v80, s10
	v_mad_u64_u32 v[0:1], s[24:25], v137, s43, v[80:81]
	s_waitcnt lgkmcnt(0)
	s_barrier
	global_load_dwordx4 v[24:27], v[0:1], off
	global_load_dwordx4 v[68:71], v[0:1], off offset:16
	global_load_dwordx4 v[64:67], v[0:1], off offset:32
	global_load_dwordx4 v[60:63], v[0:1], off offset:48
	global_load_dwordx4 v[88:91], v[0:1], off offset:64
	global_load_dwordx4 v[84:87], v[0:1], off offset:80
	global_load_dwordx4 v[76:79], v[0:1], off offset:96
	global_load_dwordx4 v[72:75], v[0:1], off offset:112
	global_load_dwordx4 v[92:95], v[0:1], off offset:128
	v_mul_lo_u16_sdwa v0, v134, s42 dst_sel:DWORD dst_unused:UNUSED_PAD src0_sel:BYTE_0 src1_sel:DWORD
	v_lshrrev_b16_e32 v138, 11, v0
	v_mul_lo_u16_e32 v0, 10, v138
	v_sub_u16_e32 v0, v134, v0
	v_and_b32_e32 v139, 0xff, v0
	v_mad_u64_u32 v[82:83], s[24:25], v139, s43, v[80:81]
	global_load_dwordx4 v[108:111], v[82:83], off
	global_load_dwordx4 v[104:107], v[82:83], off offset:16
	global_load_dwordx4 v[100:103], v[82:83], off offset:32
	global_load_dwordx4 v[96:99], v[82:83], off offset:48
	ds_read_b128 v[0:3], v164 offset:5760
	ds_read_b128 v[4:7], v164 offset:11520
	;; [unrolled: 1-line block ×8, first 2 shown]
	s_waitcnt vmcnt(12)
	buffer_store_dword v24, off, s[44:47], 0 offset:608 ; 4-byte Folded Spill
	s_nop 0
	buffer_store_dword v25, off, s[44:47], 0 offset:612 ; 4-byte Folded Spill
	buffer_store_dword v26, off, s[44:47], 0 offset:616 ; 4-byte Folded Spill
	;; [unrolled: 1-line block ×3, first 2 shown]
	s_waitcnt vmcnt(15)
	buffer_store_dword v68, off, s[44:47], 0 offset:592 ; 4-byte Folded Spill
	s_nop 0
	buffer_store_dword v69, off, s[44:47], 0 offset:596 ; 4-byte Folded Spill
	buffer_store_dword v70, off, s[44:47], 0 offset:600 ; 4-byte Folded Spill
	;; [unrolled: 1-line block ×3, first 2 shown]
	ds_read_b128 v[52:55], v164 offset:51840
	ds_read_b128 v[56:59], v164 offset:7680
	s_waitcnt vmcnt(18)
	buffer_store_dword v64, off, s[44:47], 0 offset:576 ; 4-byte Folded Spill
	s_nop 0
	buffer_store_dword v65, off, s[44:47], 0 offset:580 ; 4-byte Folded Spill
	buffer_store_dword v66, off, s[44:47], 0 offset:584 ; 4-byte Folded Spill
	buffer_store_dword v67, off, s[44:47], 0 offset:588 ; 4-byte Folded Spill
	s_waitcnt vmcnt(21)
	buffer_store_dword v60, off, s[44:47], 0 offset:560 ; 4-byte Folded Spill
	s_nop 0
	buffer_store_dword v61, off, s[44:47], 0 offset:564 ; 4-byte Folded Spill
	buffer_store_dword v62, off, s[44:47], 0 offset:568 ; 4-byte Folded Spill
	buffer_store_dword v63, off, s[44:47], 0 offset:572 ; 4-byte Folded Spill
	s_waitcnt vmcnt(24)
	buffer_store_dword v88, off, s[44:47], 0 offset:544 ; 4-byte Folded Spill
	s_nop 0
	buffer_store_dword v89, off, s[44:47], 0 offset:548 ; 4-byte Folded Spill
	buffer_store_dword v90, off, s[44:47], 0 offset:552 ; 4-byte Folded Spill
	buffer_store_dword v91, off, s[44:47], 0 offset:556 ; 4-byte Folded Spill
	s_waitcnt vmcnt(27)
	buffer_store_dword v84, off, s[44:47], 0 offset:528 ; 4-byte Folded Spill
	s_nop 0
	buffer_store_dword v85, off, s[44:47], 0 offset:532 ; 4-byte Folded Spill
	buffer_store_dword v86, off, s[44:47], 0 offset:536 ; 4-byte Folded Spill
	buffer_store_dword v87, off, s[44:47], 0 offset:540 ; 4-byte Folded Spill
	s_waitcnt vmcnt(30)
	buffer_store_dword v76, off, s[44:47], 0 offset:512 ; 4-byte Folded Spill
	s_nop 0
	buffer_store_dword v77, off, s[44:47], 0 offset:516 ; 4-byte Folded Spill
	buffer_store_dword v78, off, s[44:47], 0 offset:520 ; 4-byte Folded Spill
	buffer_store_dword v79, off, s[44:47], 0 offset:524 ; 4-byte Folded Spill
	s_waitcnt vmcnt(33)
	buffer_store_dword v72, off, s[44:47], 0 offset:496 ; 4-byte Folded Spill
	s_nop 0
	buffer_store_dword v73, off, s[44:47], 0 offset:500 ; 4-byte Folded Spill
	buffer_store_dword v74, off, s[44:47], 0 offset:504 ; 4-byte Folded Spill
	buffer_store_dword v75, off, s[44:47], 0 offset:508 ; 4-byte Folded Spill
	s_mov_b32 s24, 0xcccd
	s_movk_i32 s11, 0x64
	s_movk_i32 s42, 0x50
	;; [unrolled: 1-line block ×3, first 2 shown]
	s_waitcnt lgkmcnt(9)
	v_mul_f64 v[16:17], v[2:3], v[26:27]
	v_mul_f64 v[18:19], v[0:1], v[26:27]
	s_waitcnt lgkmcnt(8)
	v_mul_f64 v[22:23], v[4:5], v[70:71]
	s_waitcnt lgkmcnt(7)
	v_mul_f64 v[28:29], v[10:11], v[66:67]
	v_mul_f64 v[30:31], v[8:9], v[66:67]
	;; [unrolled: 1-line block ×3, first 2 shown]
	v_fma_f64 v[16:17], v[0:1], v[24:25], -v[16:17]
	v_fma_f64 v[18:19], v[2:3], v[24:25], v[18:19]
	s_waitcnt lgkmcnt(6)
	v_mul_f64 v[0:1], v[14:15], v[62:63]
	v_mul_f64 v[2:3], v[12:13], v[62:63]
	v_fma_f64 v[26:27], v[6:7], v[68:69], v[22:23]
	v_fma_f64 v[22:23], v[8:9], v[64:65], -v[28:29]
	s_waitcnt lgkmcnt(4)
	v_mul_f64 v[8:9], v[42:43], v[86:87]
	v_fma_f64 v[24:25], v[4:5], v[68:69], -v[20:21]
	v_mul_f64 v[4:5], v[36:37], v[90:91]
	v_mul_f64 v[6:7], v[34:35], v[90:91]
	v_fma_f64 v[32:33], v[12:13], v[60:61], -v[0:1]
	v_fma_f64 v[28:29], v[14:15], v[60:61], v[2:3]
	v_mul_f64 v[0:1], v[40:41], v[86:87]
	s_waitcnt lgkmcnt(3)
	v_mul_f64 v[2:3], v[46:47], v[78:79]
	v_fma_f64 v[20:21], v[10:11], v[64:65], v[30:31]
	v_mul_f64 v[10:11], v[44:45], v[78:79]
	v_fma_f64 v[34:35], v[34:35], v[88:89], -v[4:5]
	v_fma_f64 v[30:31], v[36:37], v[88:89], v[6:7]
	s_waitcnt lgkmcnt(2)
	v_mul_f64 v[4:5], v[50:51], v[74:75]
	v_mul_f64 v[6:7], v[48:49], v[74:75]
	v_fma_f64 v[42:43], v[42:43], v[84:85], v[0:1]
	v_fma_f64 v[38:39], v[44:45], v[76:77], -v[2:3]
	ds_read_b128 v[0:3], v164 offset:13440
	s_waitcnt vmcnt(35)
	buffer_store_dword v108, off, s[44:47], 0 offset:672 ; 4-byte Folded Spill
	s_nop 0
	buffer_store_dword v109, off, s[44:47], 0 offset:676 ; 4-byte Folded Spill
	buffer_store_dword v110, off, s[44:47], 0 offset:680 ; 4-byte Folded Spill
	;; [unrolled: 1-line block ×3, first 2 shown]
	v_fma_f64 v[40:41], v[40:41], v[84:85], -v[8:9]
	v_fma_f64 v[36:37], v[46:47], v[76:77], v[10:11]
	s_waitcnt lgkmcnt(2)
	v_mul_f64 v[8:9], v[54:55], v[94:95]
	v_mul_f64 v[10:11], v[52:53], v[94:95]
	v_fma_f64 v[46:47], v[48:49], v[72:73], -v[4:5]
	v_fma_f64 v[44:45], v[50:51], v[72:73], v[6:7]
	buffer_store_dword v92, off, s[44:47], 0 offset:688 ; 4-byte Folded Spill
	s_nop 0
	buffer_store_dword v93, off, s[44:47], 0 offset:692 ; 4-byte Folded Spill
	buffer_store_dword v94, off, s[44:47], 0 offset:696 ; 4-byte Folded Spill
	;; [unrolled: 1-line block ×3, first 2 shown]
	s_waitcnt vmcnt(42)
	buffer_store_dword v104, off, s[44:47], 0 offset:624 ; 4-byte Folded Spill
	s_nop 0
	buffer_store_dword v105, off, s[44:47], 0 offset:628 ; 4-byte Folded Spill
	buffer_store_dword v106, off, s[44:47], 0 offset:632 ; 4-byte Folded Spill
	;; [unrolled: 1-line block ×3, first 2 shown]
	v_add_f64 v[159:160], v[34:35], -v[38:39]
	v_add_f64 v[170:171], v[30:31], -v[36:37]
	;; [unrolled: 1-line block ×6, first 2 shown]
	s_waitcnt lgkmcnt(1)
	v_mul_f64 v[4:5], v[58:59], v[110:111]
	v_mul_f64 v[6:7], v[56:57], v[110:111]
	v_fma_f64 v[50:51], v[52:53], v[92:93], -v[8:9]
	v_fma_f64 v[56:57], v[56:57], v[108:109], -v[4:5]
	v_fma_f64 v[58:59], v[58:59], v[108:109], v[6:7]
	ds_read_b128 v[4:7], v164 offset:19200
	s_waitcnt vmcnt(45)
	buffer_store_dword v100, off, s[44:47], 0 offset:656 ; 4-byte Folded Spill
	s_nop 0
	buffer_store_dword v101, off, s[44:47], 0 offset:660 ; 4-byte Folded Spill
	buffer_store_dword v102, off, s[44:47], 0 offset:664 ; 4-byte Folded Spill
	;; [unrolled: 1-line block ×3, first 2 shown]
	v_fma_f64 v[48:49], v[54:55], v[92:93], v[10:11]
	s_waitcnt lgkmcnt(1)
	v_mul_f64 v[8:9], v[2:3], v[106:107]
	v_mul_f64 v[10:11], v[0:1], v[106:107]
	v_add_f64 v[157:158], v[22:23], -v[50:51]
	v_add_f64 v[168:169], v[20:21], -v[48:49]
	v_fma_f64 v[62:63], v[0:1], v[104:105], -v[8:9]
	v_fma_f64 v[60:61], v[2:3], v[104:105], v[10:11]
	s_waitcnt lgkmcnt(0)
	v_mul_f64 v[0:1], v[6:7], v[102:103]
	v_mul_f64 v[2:3], v[4:5], v[102:103]
	v_fma_f64 v[66:67], v[4:5], v[100:101], -v[0:1]
	v_fma_f64 v[64:65], v[6:7], v[100:101], v[2:3]
	ds_read_b128 v[0:3], v164 offset:24960
	s_waitcnt vmcnt(48)
	buffer_store_dword v96, off, s[44:47], 0 offset:640 ; 4-byte Folded Spill
	s_nop 0
	buffer_store_dword v97, off, s[44:47], 0 offset:644 ; 4-byte Folded Spill
	buffer_store_dword v98, off, s[44:47], 0 offset:648 ; 4-byte Folded Spill
	;; [unrolled: 1-line block ×3, first 2 shown]
	global_load_dwordx4 v[6:9], v[82:83], off offset:64
	s_waitcnt lgkmcnt(0)
	v_mul_f64 v[4:5], v[2:3], v[98:99]
	v_fma_f64 v[68:69], v[0:1], v[96:97], -v[4:5]
	v_mul_f64 v[0:1], v[0:1], v[98:99]
	v_fma_f64 v[70:71], v[2:3], v[96:97], v[0:1]
	ds_read_b128 v[0:3], v164 offset:30720
	s_waitcnt vmcnt(0) lgkmcnt(0)
	v_mul_f64 v[4:5], v[2:3], v[8:9]
	v_fma_f64 v[74:75], v[0:1], v[6:7], -v[4:5]
	buffer_store_dword v6, off, s[44:47], 0 offset:704 ; 4-byte Folded Spill
	s_nop 0
	buffer_store_dword v7, off, s[44:47], 0 offset:708 ; 4-byte Folded Spill
	buffer_store_dword v8, off, s[44:47], 0 offset:712 ; 4-byte Folded Spill
	buffer_store_dword v9, off, s[44:47], 0 offset:716 ; 4-byte Folded Spill
	v_mul_f64 v[0:1], v[0:1], v[8:9]
	v_fma_f64 v[72:73], v[2:3], v[6:7], v[0:1]
	global_load_dwordx4 v[6:9], v[82:83], off offset:80
	s_waitcnt vmcnt(0)
	buffer_store_dword v6, off, s[44:47], 0 offset:720 ; 4-byte Folded Spill
	s_nop 0
	buffer_store_dword v7, off, s[44:47], 0 offset:724 ; 4-byte Folded Spill
	buffer_store_dword v8, off, s[44:47], 0 offset:728 ; 4-byte Folded Spill
	;; [unrolled: 1-line block ×3, first 2 shown]
	ds_read_b128 v[0:3], v164 offset:36480
	s_waitcnt lgkmcnt(0)
	v_mul_f64 v[4:5], v[2:3], v[8:9]
	v_fma_f64 v[76:77], v[0:1], v[6:7], -v[4:5]
	v_mul_f64 v[0:1], v[0:1], v[8:9]
	v_add_f64 v[184:185], v[68:69], -v[76:77]
	v_fma_f64 v[78:79], v[2:3], v[6:7], v[0:1]
	global_load_dwordx4 v[6:9], v[82:83], off offset:96
	s_waitcnt vmcnt(0)
	buffer_store_dword v6, off, s[44:47], 0 offset:736 ; 4-byte Folded Spill
	s_nop 0
	buffer_store_dword v7, off, s[44:47], 0 offset:740 ; 4-byte Folded Spill
	buffer_store_dword v8, off, s[44:47], 0 offset:744 ; 4-byte Folded Spill
	;; [unrolled: 1-line block ×3, first 2 shown]
	ds_read_b128 v[0:3], v164 offset:42240
	s_waitcnt lgkmcnt(0)
	v_mul_f64 v[4:5], v[2:3], v[8:9]
	v_fma_f64 v[120:121], v[0:1], v[6:7], -v[4:5]
	v_mul_f64 v[0:1], v[0:1], v[8:9]
	v_fma_f64 v[118:119], v[2:3], v[6:7], v[0:1]
	global_load_dwordx4 v[6:9], v[82:83], off offset:112
	s_waitcnt vmcnt(0)
	buffer_store_dword v6, off, s[44:47], 0 offset:752 ; 4-byte Folded Spill
	s_nop 0
	buffer_store_dword v7, off, s[44:47], 0 offset:756 ; 4-byte Folded Spill
	buffer_store_dword v8, off, s[44:47], 0 offset:760 ; 4-byte Folded Spill
	;; [unrolled: 1-line block ×3, first 2 shown]
	ds_read_b128 v[0:3], v164 offset:48000
	s_waitcnt lgkmcnt(0)
	v_mul_f64 v[4:5], v[2:3], v[8:9]
	v_fma_f64 v[122:123], v[0:1], v[6:7], -v[4:5]
	v_mul_f64 v[0:1], v[0:1], v[8:9]
	v_fma_f64 v[124:125], v[2:3], v[6:7], v[0:1]
	global_load_dwordx4 v[6:9], v[82:83], off offset:128
	ds_read_b128 v[0:3], v164 offset:53760
	s_waitcnt vmcnt(0) lgkmcnt(0)
	v_mul_f64 v[4:5], v[2:3], v[8:9]
	v_fma_f64 v[128:129], v[0:1], v[6:7], -v[4:5]
	buffer_store_dword v6, off, s[44:47], 0 offset:768 ; 4-byte Folded Spill
	s_nop 0
	buffer_store_dword v7, off, s[44:47], 0 offset:772 ; 4-byte Folded Spill
	buffer_store_dword v8, off, s[44:47], 0 offset:776 ; 4-byte Folded Spill
	;; [unrolled: 1-line block ×3, first 2 shown]
	v_mul_f64 v[0:1], v[0:1], v[8:9]
	v_fma_f64 v[126:127], v[2:3], v[6:7], v[0:1]
	v_mul_u32_u24_sdwa v0, v133, s24 dst_sel:DWORD dst_unused:UNUSED_PAD src0_sel:WORD_0 src1_sel:DWORD
	v_lshrrev_b32_e32 v140, 19, v0
	v_mul_lo_u16_e32 v0, 10, v140
	v_sub_u16_e32 v141, v133, v0
	v_mul_lo_u16_e32 v0, 0x90, v141
	v_add_co_u32_e32 v4, vcc, s10, v0
	v_addc_co_u32_e32 v5, vcc, 0, v135, vcc
	global_load_dwordx4 v[8:11], v[4:5], off
	ds_read_b128 v[0:3], v164 offset:9600
	v_cmp_gt_u16_e32 vcc, s11, v192
	s_waitcnt vmcnt(0) lgkmcnt(0)
	v_mul_f64 v[6:7], v[2:3], v[10:11]
	v_fma_f64 v[82:83], v[0:1], v[8:9], -v[6:7]
	buffer_store_dword v8, off, s[44:47], 0 offset:784 ; 4-byte Folded Spill
	s_nop 0
	buffer_store_dword v9, off, s[44:47], 0 offset:788 ; 4-byte Folded Spill
	buffer_store_dword v10, off, s[44:47], 0 offset:792 ; 4-byte Folded Spill
	buffer_store_dword v11, off, s[44:47], 0 offset:796 ; 4-byte Folded Spill
	v_mul_f64 v[0:1], v[0:1], v[10:11]
	v_fma_f64 v[84:85], v[2:3], v[8:9], v[0:1]
	global_load_dwordx4 v[8:11], v[4:5], off offset:16
	s_waitcnt vmcnt(0)
	buffer_store_dword v8, off, s[44:47], 0 offset:800 ; 4-byte Folded Spill
	s_nop 0
	buffer_store_dword v9, off, s[44:47], 0 offset:804 ; 4-byte Folded Spill
	buffer_store_dword v10, off, s[44:47], 0 offset:808 ; 4-byte Folded Spill
	buffer_store_dword v11, off, s[44:47], 0 offset:812 ; 4-byte Folded Spill
	ds_read_b128 v[0:3], v164 offset:15360
	s_waitcnt lgkmcnt(0)
	v_mul_f64 v[6:7], v[2:3], v[10:11]
	v_fma_f64 v[86:87], v[0:1], v[8:9], -v[6:7]
	v_mul_f64 v[0:1], v[0:1], v[10:11]
	v_fma_f64 v[88:89], v[2:3], v[8:9], v[0:1]
	global_load_dwordx4 v[8:11], v[4:5], off offset:32
	s_waitcnt vmcnt(0)
	buffer_store_dword v8, off, s[44:47], 0 offset:816 ; 4-byte Folded Spill
	s_nop 0
	buffer_store_dword v9, off, s[44:47], 0 offset:820 ; 4-byte Folded Spill
	buffer_store_dword v10, off, s[44:47], 0 offset:824 ; 4-byte Folded Spill
	buffer_store_dword v11, off, s[44:47], 0 offset:828 ; 4-byte Folded Spill
	ds_read_b128 v[0:3], v164 offset:21120
	s_waitcnt lgkmcnt(0)
	v_mul_f64 v[6:7], v[2:3], v[10:11]
	v_fma_f64 v[92:93], v[0:1], v[8:9], -v[6:7]
	;; [unrolled: 13-line block ×3, first 2 shown]
	v_mul_f64 v[0:1], v[0:1], v[10:11]
	v_fma_f64 v[96:97], v[2:3], v[8:9], v[0:1]
	global_load_dwordx4 v[8:11], v[4:5], off offset:64
	ds_read_b128 v[0:3], v164 offset:32640
	s_waitcnt vmcnt(0) lgkmcnt(0)
	v_mul_f64 v[6:7], v[2:3], v[10:11]
	v_fma_f64 v[100:101], v[0:1], v[8:9], -v[6:7]
	buffer_store_dword v8, off, s[44:47], 0 offset:928 ; 4-byte Folded Spill
	s_nop 0
	buffer_store_dword v9, off, s[44:47], 0 offset:932 ; 4-byte Folded Spill
	buffer_store_dword v10, off, s[44:47], 0 offset:936 ; 4-byte Folded Spill
	;; [unrolled: 1-line block ×3, first 2 shown]
	v_mul_f64 v[0:1], v[0:1], v[10:11]
	v_fma_f64 v[98:99], v[2:3], v[8:9], v[0:1]
	global_load_dwordx4 v[8:11], v[4:5], off offset:80
	s_waitcnt vmcnt(0)
	buffer_store_dword v8, off, s[44:47], 0 offset:944 ; 4-byte Folded Spill
	s_nop 0
	buffer_store_dword v9, off, s[44:47], 0 offset:948 ; 4-byte Folded Spill
	buffer_store_dword v10, off, s[44:47], 0 offset:952 ; 4-byte Folded Spill
	buffer_store_dword v11, off, s[44:47], 0 offset:956 ; 4-byte Folded Spill
	ds_read_b128 v[0:3], v164 offset:38400
	s_waitcnt lgkmcnt(0)
	v_mul_f64 v[6:7], v[2:3], v[10:11]
	v_fma_f64 v[102:103], v[0:1], v[8:9], -v[6:7]
	v_mul_f64 v[0:1], v[0:1], v[10:11]
	v_fma_f64 v[104:105], v[2:3], v[8:9], v[0:1]
	global_load_dwordx4 v[8:11], v[4:5], off offset:96
	s_waitcnt vmcnt(0)
	buffer_store_dword v8, off, s[44:47], 0 offset:960 ; 4-byte Folded Spill
	s_nop 0
	buffer_store_dword v9, off, s[44:47], 0 offset:964 ; 4-byte Folded Spill
	buffer_store_dword v10, off, s[44:47], 0 offset:968 ; 4-byte Folded Spill
	buffer_store_dword v11, off, s[44:47], 0 offset:972 ; 4-byte Folded Spill
	ds_read_b128 v[0:3], v164 offset:44160
	s_waitcnt lgkmcnt(0)
	v_mul_f64 v[6:7], v[2:3], v[10:11]
	v_fma_f64 v[108:109], v[0:1], v[8:9], -v[6:7]
	;; [unrolled: 13-line block ×4, first 2 shown]
	v_mul_f64 v[0:1], v[0:1], v[8:9]
	v_add_f64 v[4:5], v[32:33], v[40:41]
	v_fma_f64 v[114:115], v[2:3], v[6:7], v[0:1]
	ds_read_b128 v[0:3], v164
	v_add_f64 v[6:7], v[18:19], v[20:21]
	s_waitcnt lgkmcnt(0)
	v_fma_f64 v[52:53], v[4:5], -0.5, v[0:1]
	v_add_f64 v[4:5], v[24:25], v[46:47]
	v_add_f64 v[6:7], v[6:7], v[30:31]
	v_fma_f64 v[54:55], v[4:5], -0.5, v[0:1]
	v_add_f64 v[4:5], v[28:29], v[42:43]
	v_add_f64 v[0:1], v[0:1], v[24:25]
	v_add_f64 v[6:7], v[6:7], v[36:37]
	v_fma_f64 v[130:131], v[4:5], -0.5, v[2:3]
	v_add_f64 v[4:5], v[26:27], v[44:45]
	;; [unrolled: 4-line block ×3, first 2 shown]
	v_add_f64 v[4:5], v[16:17], v[22:23]
	v_add_f64 v[0:1], v[0:1], v[40:41]
	;; [unrolled: 1-line block ×11, first 2 shown]
	v_add_f64 v[4:5], v[8:9], -v[4:5]
	v_add_f64 v[6:7], v[10:11], -v[6:7]
	;; [unrolled: 1-line block ×6, first 2 shown]
	v_add_f64 v[46:47], v[58:59], v[64:65]
	v_add_f64 v[144:145], v[8:9], v[10:11]
	v_add_f64 v[8:9], v[26:27], -v[28:29]
	v_add_f64 v[10:11], v[44:45], -v[42:43]
	;; [unrolled: 1-line block ×4, first 2 shown]
	v_add_f64 v[24:25], v[24:25], v[32:33]
	v_add_f64 v[46:47], v[46:47], v[72:73]
	;; [unrolled: 1-line block ×3, first 2 shown]
	v_add_f64 v[8:9], v[22:23], -v[34:35]
	v_add_f64 v[10:11], v[50:51], -v[38:39]
	v_add_f64 v[26:27], v[26:27], v[28:29]
	v_add_f64 v[46:47], v[46:47], v[118:119]
	;; [unrolled: 1-line block ×3, first 2 shown]
	v_add_f64 v[8:9], v[20:21], -v[30:31]
	v_add_f64 v[10:11], v[48:49], -v[36:37]
	v_add_f64 v[46:47], v[46:47], v[126:127]
	v_add_f64 v[151:152], v[8:9], v[10:11]
	;; [unrolled: 1-line block ×3, first 2 shown]
	v_add_f64 v[34:35], v[34:35], -v[22:23]
	v_add_f64 v[22:23], v[22:23], v[50:51]
	v_add_f64 v[38:39], v[38:39], -v[50:51]
	v_fma_f64 v[153:154], v[8:9], -0.5, v[16:17]
	v_add_f64 v[8:9], v[30:31], v[36:37]
	v_add_f64 v[30:31], v[30:31], -v[20:21]
	v_add_f64 v[20:21], v[20:21], v[48:49]
	v_add_f64 v[36:37], v[36:37], -v[48:49]
	v_fma_f64 v[28:29], v[22:23], -0.5, v[16:17]
	v_add_f64 v[32:33], v[34:35], v[38:39]
	v_fma_f64 v[10:11], v[168:169], s[6:7], v[153:154]
	v_fma_f64 v[155:156], v[8:9], -0.5, v[18:19]
	v_fma_f64 v[40:41], v[20:21], -0.5, v[18:19]
	v_add_f64 v[30:31], v[30:31], v[36:37]
	v_fma_f64 v[18:19], v[170:171], s[12:13], v[28:29]
	v_fma_f64 v[28:29], v[170:171], s[6:7], v[28:29]
	;; [unrolled: 1-line block ×18, first 2 shown]
	v_mul_f64 v[12:13], v[8:9], s[8:9]
	v_mul_f64 v[20:21], v[16:17], s[6:7]
	v_fma_f64 v[30:31], v[30:31], s[14:15], v[32:33]
	v_mul_f64 v[32:33], v[28:29], s[20:21]
	v_fma_f64 v[172:173], v[10:11], s[22:23], v[12:13]
	v_fma_f64 v[34:35], v[18:19], s[14:15], v[20:21]
	v_mul_f64 v[18:19], v[18:19], s[12:13]
	v_fma_f64 v[20:21], v[180:181], s[6:7], v[142:143]
	v_mul_f64 v[10:11], v[10:11], s[16:17]
	v_fma_f64 v[12:13], v[178:179], s[12:13], v[130:131]
	v_fma_f64 v[32:33], v[30:31], s[6:7], v[32:33]
	v_mul_f64 v[30:31], v[30:31], s[20:21]
	v_fma_f64 v[18:19], v[16:17], s[14:15], v[18:19]
	v_fma_f64 v[16:17], v[176:177], s[12:13], v[54:55]
	;; [unrolled: 1-line block ×11, first 2 shown]
	v_add_f64 v[22:23], v[36:37], v[18:19]
	v_add_f64 v[18:19], v[36:37], -v[18:19]
	v_fma_f64 v[36:37], v[178:179], s[6:7], v[130:131]
	v_fma_f64 v[8:9], v[144:145], s[14:15], v[8:9]
	v_add_f64 v[14:15], v[182:183], v[10:11]
	v_add_f64 v[10:11], v[182:183], -v[10:11]
	v_add_f64 v[182:183], v[62:63], -v[122:123]
	v_add_f64 v[20:21], v[16:17], v[34:35]
	v_add_f64 v[16:17], v[16:17], -v[34:35]
	v_fma_f64 v[34:35], v[176:177], s[6:7], v[54:55]
	v_fma_f64 v[36:37], v[180:181], s[8:9], v[36:37]
	v_add_f64 v[12:13], v[8:9], v[172:173]
	v_add_f64 v[8:9], v[8:9], -v[172:173]
	v_add_f64 v[172:173], v[64:65], -v[126:127]
	v_fma_f64 v[34:35], v[174:175], s[16:17], v[34:35]
	v_fma_f64 v[40:41], v[146:147], s[14:15], v[36:37]
	;; [unrolled: 1-line block ×5, first 2 shown]
	v_add_f64 v[180:181], v[70:71], -v[78:79]
	v_fma_f64 v[34:35], v[178:179], s[8:9], v[34:35]
	v_add_f64 v[178:179], v[60:61], -v[124:125]
	v_fma_f64 v[26:27], v[26:27], s[14:15], v[34:35]
	v_fma_f64 v[34:35], v[28:29], s[12:13], v[30:31]
	v_add_f64 v[28:29], v[24:25], v[32:33]
	v_add_f64 v[24:25], v[24:25], -v[32:33]
	v_fma_f64 v[32:33], v[168:169], s[12:13], v[153:154]
	v_add_f64 v[168:169], v[66:67], -v[128:129]
	v_add_f64 v[30:31], v[26:27], v[34:35]
	v_add_f64 v[26:27], v[26:27], -v[34:35]
	v_fma_f64 v[34:35], v[174:175], s[12:13], v[52:53]
	v_fma_f64 v[32:33], v[170:171], s[16:17], v[32:33]
	v_add_f64 v[174:175], v[72:73], -v[118:119]
	v_add_f64 v[170:171], v[74:75], -v[120:121]
	v_fma_f64 v[34:35], v[176:177], s[16:17], v[34:35]
	v_fma_f64 v[32:33], v[148:149], s[14:15], v[32:33]
	;; [unrolled: 1-line block ×3, first 2 shown]
	v_mul_f64 v[38:39], v[32:33], s[18:19]
	v_fma_f64 v[42:43], v[36:37], s[8:9], v[38:39]
	v_mul_f64 v[36:37], v[36:37], s[18:19]
	v_fma_f64 v[44:45], v[32:33], s[16:17], v[36:37]
	v_add_f64 v[36:37], v[34:35], v[42:43]
	v_add_f64 v[32:33], v[34:35], -v[42:43]
	v_add_f64 v[38:39], v[40:41], v[44:45]
	v_add_f64 v[34:35], v[40:41], -v[44:45]
	v_add_f64 v[44:45], v[68:69], v[76:77]
	ds_read_b128 v[40:43], v164 offset:1920
	s_waitcnt lgkmcnt(0)
	v_fma_f64 v[130:131], v[44:45], -0.5, v[40:41]
	v_add_f64 v[44:45], v[62:63], v[122:123]
	v_fma_f64 v[142:143], v[44:45], -0.5, v[40:41]
	v_add_f64 v[44:45], v[70:71], v[78:79]
	v_add_f64 v[40:41], v[40:41], v[62:63]
	v_fma_f64 v[144:145], v[44:45], -0.5, v[42:43]
	v_add_f64 v[44:45], v[60:61], v[124:125]
	;; [unrolled: 3-line block ×3, first 2 shown]
	v_add_f64 v[44:45], v[56:57], v[66:67]
	v_add_f64 v[40:41], v[40:41], v[76:77]
	;; [unrolled: 1-line block ×11, first 2 shown]
	v_add_f64 v[44:45], v[48:49], -v[44:45]
	v_add_f64 v[46:47], v[50:51], -v[46:47]
	;; [unrolled: 1-line block ×7, first 2 shown]
	v_add_f64 v[148:149], v[48:49], v[50:51]
	v_add_f64 v[48:49], v[60:61], -v[70:71]
	v_add_f64 v[50:51], v[124:125], -v[78:79]
	;; [unrolled: 1-line block ×5, first 2 shown]
	v_add_f64 v[68:69], v[62:63], v[68:69]
	v_add_f64 v[124:125], v[86:87], v[110:111]
	v_add_f64 v[151:152], v[48:49], v[50:51]
	v_add_f64 v[48:49], v[66:67], -v[74:75]
	v_add_f64 v[50:51], v[128:129], -v[120:121]
	v_add_f64 v[70:71], v[60:61], v[70:71]
	v_add_f64 v[153:154], v[48:49], v[50:51]
	v_add_f64 v[48:49], v[64:65], -v[72:73]
	v_add_f64 v[50:51], v[126:127], -v[118:119]
	v_add_f64 v[155:156], v[48:49], v[50:51]
	v_add_f64 v[48:49], v[74:75], v[120:121]
	v_add_f64 v[74:75], v[74:75], -v[66:67]
	v_add_f64 v[66:67], v[66:67], v[128:129]
	v_add_f64 v[128:129], v[84:85], v[90:91]
	v_fma_f64 v[157:158], v[48:49], -0.5, v[56:57]
	v_add_f64 v[48:49], v[72:73], v[118:119]
	v_add_f64 v[72:73], v[72:73], -v[64:65]
	v_add_f64 v[64:65], v[64:65], v[126:127]
	v_fma_f64 v[66:67], v[66:67], -0.5, v[56:57]
	v_add_f64 v[74:75], v[74:75], v[76:77]
	v_add_f64 v[126:127], v[96:97], v[104:105]
	;; [unrolled: 1-line block ×3, first 2 shown]
	v_fma_f64 v[50:51], v[172:173], s[6:7], v[157:158]
	v_fma_f64 v[159:160], v[48:49], -0.5, v[58:59]
	v_add_f64 v[72:73], v[72:73], v[78:79]
	v_fma_f64 v[64:65], v[64:65], -0.5, v[58:59]
	v_fma_f64 v[58:59], v[174:175], s[12:13], v[66:67]
	v_fma_f64 v[66:67], v[174:175], s[6:7], v[66:67]
	v_add_f64 v[128:129], v[128:129], v[106:107]
	v_fma_f64 v[50:51], v[174:175], s[8:9], v[50:51]
	v_fma_f64 v[48:49], v[168:169], s[12:13], v[159:160]
	;; [unrolled: 1-line block ×6, first 2 shown]
	v_add_f64 v[128:129], v[128:129], v[114:115]
	v_fma_f64 v[50:51], v[153:154], s[14:15], v[50:51]
	v_fma_f64 v[48:49], v[170:171], s[16:17], v[48:49]
	;; [unrolled: 1-line block ×11, first 2 shown]
	v_mul_f64 v[52:53], v[48:49], s[8:9]
	v_mul_f64 v[60:61], v[56:57], s[6:7]
	v_fma_f64 v[74:75], v[148:149], s[14:15], v[74:75]
	v_fma_f64 v[176:177], v[50:51], s[22:23], v[52:53]
	v_mul_f64 v[50:51], v[50:51], s[16:17]
	v_fma_f64 v[76:77], v[58:59], s[14:15], v[60:61]
	v_mul_f64 v[58:59], v[58:59], s[12:13]
	v_fma_f64 v[60:61], v[184:185], s[6:7], v[146:147]
	v_fma_f64 v[52:53], v[182:183], s[12:13], v[144:145]
	;; [unrolled: 1-line block ×14, first 2 shown]
	v_add_f64 v[62:63], v[78:79], v[58:59]
	v_add_f64 v[58:59], v[78:79], -v[58:59]
	v_add_f64 v[54:55], v[186:187], v[50:51]
	v_add_f64 v[50:51], v[186:187], -v[50:51]
	v_add_f64 v[186:187], v[94:95], -v[102:103]
	v_add_f64 v[52:53], v[48:49], v[176:177]
	v_add_f64 v[48:49], v[48:49], -v[176:177]
	v_add_f64 v[60:61], v[56:57], v[76:77]
	v_add_f64 v[56:57], v[56:57], -v[76:77]
	v_fma_f64 v[76:77], v[180:181], s[6:7], v[142:143]
	v_add_f64 v[176:177], v[90:91], -v[114:115]
	v_add_f64 v[180:181], v[88:89], -v[112:113]
	v_fma_f64 v[76:77], v[178:179], s[16:17], v[76:77]
	v_add_f64 v[178:179], v[98:99], -v[106:107]
	v_fma_f64 v[76:77], v[68:69], s[14:15], v[76:77]
	v_fma_f64 v[68:69], v[184:185], s[12:13], v[146:147]
	;; [unrolled: 1-line block ×4, first 2 shown]
	v_mul_f64 v[68:69], v[66:67], s[20:21]
	v_fma_f64 v[72:73], v[64:65], s[6:7], v[68:69]
	v_mul_f64 v[64:65], v[64:65], s[20:21]
	v_add_f64 v[68:69], v[76:77], v[72:73]
	v_fma_f64 v[66:67], v[66:67], s[12:13], v[64:65]
	v_add_f64 v[64:65], v[76:77], -v[72:73]
	v_fma_f64 v[72:73], v[172:173], s[12:13], v[157:158]
	v_fma_f64 v[76:77], v[182:183], s[6:7], v[144:145]
	v_add_f64 v[172:173], v[92:93], -v[116:117]
	v_add_f64 v[182:183], v[96:97], -v[104:105]
	v_add_f64 v[70:71], v[78:79], v[66:67]
	v_add_f64 v[66:67], v[78:79], -v[66:67]
	v_fma_f64 v[78:79], v[168:169], s[6:7], v[159:160]
	v_fma_f64 v[72:73], v[174:175], s[16:17], v[72:73]
	;; [unrolled: 1-line block ×3, first 2 shown]
	v_add_f64 v[174:175], v[100:101], -v[108:109]
	v_add_f64 v[184:185], v[86:87], -v[110:111]
	v_fma_f64 v[78:79], v[170:171], s[8:9], v[78:79]
	v_fma_f64 v[72:73], v[153:154], s[14:15], v[72:73]
	;; [unrolled: 1-line block ×4, first 2 shown]
	v_mul_f64 v[78:79], v[72:73], s[18:19]
	v_fma_f64 v[120:121], v[76:77], s[8:9], v[78:79]
	v_mul_f64 v[76:77], v[76:77], s[18:19]
	v_fma_f64 v[122:123], v[72:73], s[16:17], v[76:77]
	v_add_f64 v[76:77], v[74:75], v[120:121]
	v_add_f64 v[72:73], v[74:75], -v[120:121]
	v_add_f64 v[78:79], v[118:119], v[122:123]
	v_add_f64 v[74:75], v[118:119], -v[122:123]
	ds_read_b128 v[120:123], v164 offset:3840
	v_add_f64 v[118:119], v[94:95], v[102:103]
	s_waitcnt vmcnt(0) lgkmcnt(0)
	s_barrier
	v_fma_f64 v[130:131], v[126:127], -0.5, v[122:123]
	v_add_f64 v[126:127], v[88:89], v[112:113]
	v_fma_f64 v[124:125], v[124:125], -0.5, v[120:121]
	v_fma_f64 v[118:119], v[118:119], -0.5, v[120:121]
	v_add_f64 v[120:121], v[120:121], v[86:87]
	v_fma_f64 v[151:152], v[126:127], -0.5, v[122:123]
	v_add_f64 v[122:123], v[122:123], v[88:89]
	v_add_f64 v[126:127], v[82:83], v[92:93]
	;; [unrolled: 1-line block ×13, first 2 shown]
	v_add_f64 v[126:127], v[142:143], -v[126:127]
	v_add_f64 v[128:129], v[144:145], -v[128:129]
	;; [unrolled: 1-line block ×7, first 2 shown]
	v_add_f64 v[153:154], v[142:143], v[144:145]
	v_add_f64 v[142:143], v[88:89], -v[96:97]
	v_add_f64 v[144:145], v[112:113], -v[104:105]
	;; [unrolled: 1-line block ×5, first 2 shown]
	v_add_f64 v[94:95], v[86:87], v[94:95]
	v_add_f64 v[155:156], v[142:143], v[144:145]
	v_add_f64 v[142:143], v[92:93], -v[100:101]
	v_add_f64 v[144:145], v[116:117], -v[108:109]
	v_add_f64 v[96:97], v[88:89], v[96:97]
	v_add_f64 v[157:158], v[142:143], v[144:145]
	v_add_f64 v[142:143], v[90:91], -v[98:99]
	v_add_f64 v[144:145], v[114:115], -v[106:107]
	v_add_f64 v[159:160], v[142:143], v[144:145]
	v_add_f64 v[142:143], v[100:101], v[108:109]
	v_add_f64 v[100:101], v[100:101], -v[92:93]
	v_add_f64 v[92:93], v[92:93], v[116:117]
	v_fma_f64 v[168:169], v[142:143], -0.5, v[82:83]
	v_add_f64 v[142:143], v[98:99], v[106:107]
	v_add_f64 v[98:99], v[98:99], -v[90:91]
	v_add_f64 v[90:91], v[90:91], v[114:115]
	v_fma_f64 v[92:93], v[92:93], -0.5, v[82:83]
	v_add_f64 v[100:101], v[100:101], v[102:103]
	v_fma_f64 v[144:145], v[176:177], s[6:7], v[168:169]
	v_fma_f64 v[170:171], v[142:143], -0.5, v[84:85]
	v_add_f64 v[98:99], v[98:99], v[104:105]
	v_fma_f64 v[90:91], v[90:91], -0.5, v[84:85]
	v_fma_f64 v[84:85], v[178:179], s[12:13], v[92:93]
	v_fma_f64 v[92:93], v[178:179], s[6:7], v[92:93]
	;; [unrolled: 1-line block ×17, first 2 shown]
	v_mul_f64 v[98:99], v[92:93], s[20:21]
	v_mul_f64 v[146:147], v[142:143], s[8:9]
	;; [unrolled: 1-line block ×3, first 2 shown]
	v_fma_f64 v[98:99], v[90:91], s[6:7], v[98:99]
	v_mul_f64 v[90:91], v[90:91], s[20:21]
	v_fma_f64 v[146:147], v[144:145], s[22:23], v[146:147]
	v_mul_f64 v[144:145], v[144:145], s[16:17]
	;; [unrolled: 2-line block ×3, first 2 shown]
	v_fma_f64 v[100:101], v[92:93], s[12:13], v[90:91]
	v_fma_f64 v[148:149], v[142:143], s[22:23], v[144:145]
	;; [unrolled: 1-line block ×15, first 2 shown]
	v_add_f64 v[142:143], v[188:189], v[146:147]
	v_add_f64 v[146:147], v[188:189], -v[146:147]
	v_add_f64 v[82:83], v[102:103], v[86:87]
	v_add_f64 v[86:87], v[102:103], -v[86:87]
	v_fma_f64 v[102:103], v[182:183], s[6:7], v[124:125]
	v_add_f64 v[84:85], v[104:105], v[88:89]
	v_add_f64 v[88:89], v[104:105], -v[88:89]
	v_fma_f64 v[104:105], v[172:173], s[6:7], v[170:171]
	;; [unrolled: 3-line block ×3, first 2 shown]
	v_fma_f64 v[104:105], v[174:175], s[8:9], v[104:105]
	v_fma_f64 v[94:95], v[94:95], s[14:15], v[102:103]
	;; [unrolled: 1-line block ×3, first 2 shown]
	v_add_f64 v[90:91], v[94:95], v[98:99]
	v_fma_f64 v[102:103], v[184:185], s[8:9], v[102:103]
	v_add_f64 v[94:95], v[94:95], -v[98:99]
	v_fma_f64 v[98:99], v[176:177], s[12:13], v[168:169]
	v_fma_f64 v[96:97], v[96:97], s[14:15], v[102:103]
	;; [unrolled: 1-line block ×4, first 2 shown]
	v_add_f64 v[92:93], v[96:97], v[100:101]
	v_add_f64 v[96:97], v[96:97], -v[100:101]
	v_fma_f64 v[100:101], v[180:181], s[12:13], v[118:119]
	v_fma_f64 v[102:103], v[186:187], s[8:9], v[102:103]
	;; [unrolled: 1-line block ×5, first 2 shown]
	v_mul_f64 v[102:103], v[98:99], s[18:19]
	v_fma_f64 v[106:107], v[153:154], s[14:15], v[100:101]
	v_fma_f64 v[100:101], v[159:160], s[14:15], v[104:105]
	;; [unrolled: 1-line block ×3, first 2 shown]
	v_mul_f64 v[100:101], v[100:101], s[18:19]
	v_fma_f64 v[104:105], v[98:99], s[16:17], v[100:101]
	v_add_f64 v[98:99], v[106:107], v[102:103]
	v_add_f64 v[102:103], v[106:107], -v[102:103]
	v_mul_u32_u24_e32 v106, 0x64, v136
	v_add_lshl_u32 v156, v106, v137, 4
	ds_write_b128 v156, v[0:3]
	ds_write_b128 v156, v[12:15] offset:160
	ds_write_b128 v156, v[20:23] offset:320
	;; [unrolled: 1-line block ×9, first 2 shown]
	v_mul_u32_u24_e32 v0, 0x64, v138
	v_add_lshl_u32 v165, v0, v139, 4
	v_mad_legacy_u16 v0, v140, s11, v141
	v_lshlrev_b32_e32 v163, 4, v0
	v_add_u32_e32 v0, 0xffffff9c, v192
	v_add_f64 v[100:101], v[108:109], v[104:105]
	v_cndmask_b32_e32 v118, v0, v192, vcc
	v_mul_i32_i24_e32 v1, 0x50, v118
	v_mul_hi_i32_i24_e32 v0, 0x50, v118
	v_add_co_u32_e32 v4, vcc, s10, v1
	v_addc_co_u32_e32 v5, vcc, v135, v0, vcc
	v_add_f64 v[104:105], v[108:109], -v[104:105]
	ds_write_b128 v165, v[40:43]
	ds_write_b128 v165, v[52:55] offset:160
	ds_write_b128 v165, v[60:63] offset:320
	;; [unrolled: 1-line block ×9, first 2 shown]
	ds_write_b128 v163, v[120:123]
	ds_write_b128 v163, v[142:145] offset:160
	ds_write_b128 v163, v[82:85] offset:320
	;; [unrolled: 1-line block ×9, first 2 shown]
	s_waitcnt lgkmcnt(0)
	s_barrier
	global_load_dwordx4 v[10:13], v[4:5], off offset:1440
	ds_read_b128 v[0:3], v164 offset:9600
	s_waitcnt vmcnt(0) lgkmcnt(0)
	v_mul_f64 v[6:7], v[2:3], v[12:13]
	v_fma_f64 v[8:9], v[0:1], v[10:11], -v[6:7]
	buffer_store_dword v10, off, s[44:47], 0 offset:832 ; 4-byte Folded Spill
	s_nop 0
	buffer_store_dword v11, off, s[44:47], 0 offset:836 ; 4-byte Folded Spill
	buffer_store_dword v12, off, s[44:47], 0 offset:840 ; 4-byte Folded Spill
	;; [unrolled: 1-line block ×3, first 2 shown]
	global_load_dwordx4 v[14:17], v[4:5], off offset:1456
	s_waitcnt vmcnt(0)
	buffer_store_dword v14, off, s[44:47], 0 offset:864 ; 4-byte Folded Spill
	s_nop 0
	buffer_store_dword v15, off, s[44:47], 0 offset:868 ; 4-byte Folded Spill
	buffer_store_dword v16, off, s[44:47], 0 offset:872 ; 4-byte Folded Spill
	;; [unrolled: 1-line block ×3, first 2 shown]
	global_load_dwordx4 v[20:23], v[4:5], off offset:1472
	v_mul_f64 v[0:1], v[0:1], v[12:13]
	v_fma_f64 v[10:11], v[2:3], v[10:11], v[0:1]
	ds_read_b128 v[0:3], v164 offset:19200
	s_waitcnt vmcnt(0)
	buffer_store_dword v20, off, s[44:47], 0 offset:880 ; 4-byte Folded Spill
	s_nop 0
	buffer_store_dword v21, off, s[44:47], 0 offset:884 ; 4-byte Folded Spill
	buffer_store_dword v22, off, s[44:47], 0 offset:888 ; 4-byte Folded Spill
	;; [unrolled: 1-line block ×3, first 2 shown]
	s_waitcnt lgkmcnt(0)
	v_mul_f64 v[6:7], v[2:3], v[16:17]
	v_fma_f64 v[12:13], v[0:1], v[14:15], -v[6:7]
	v_mul_f64 v[0:1], v[0:1], v[16:17]
	v_fma_f64 v[14:15], v[2:3], v[14:15], v[0:1]
	ds_read_b128 v[0:3], v164 offset:28800
	s_waitcnt lgkmcnt(0)
	v_mul_f64 v[6:7], v[2:3], v[22:23]
	v_fma_f64 v[18:19], v[0:1], v[20:21], -v[6:7]
	v_mul_f64 v[0:1], v[0:1], v[22:23]
	global_load_dwordx4 v[22:25], v[4:5], off offset:1488
	s_waitcnt vmcnt(0)
	buffer_store_dword v22, off, s[44:47], 0 offset:912 ; 4-byte Folded Spill
	s_nop 0
	buffer_store_dword v23, off, s[44:47], 0 offset:916 ; 4-byte Folded Spill
	buffer_store_dword v24, off, s[44:47], 0 offset:920 ; 4-byte Folded Spill
	;; [unrolled: 1-line block ×3, first 2 shown]
	global_load_dwordx4 v[28:31], v[4:5], off offset:1504
	v_fma_f64 v[16:17], v[2:3], v[20:21], v[0:1]
	ds_read_b128 v[0:3], v164 offset:38400
	s_waitcnt vmcnt(0)
	buffer_store_dword v28, off, s[44:47], 0 offset:896 ; 4-byte Folded Spill
	s_nop 0
	buffer_store_dword v29, off, s[44:47], 0 offset:900 ; 4-byte Folded Spill
	buffer_store_dword v30, off, s[44:47], 0 offset:904 ; 4-byte Folded Spill
	;; [unrolled: 1-line block ×3, first 2 shown]
	s_waitcnt lgkmcnt(0)
	v_mul_f64 v[6:7], v[2:3], v[24:25]
	v_fma_f64 v[20:21], v[0:1], v[22:23], -v[6:7]
	v_mul_f64 v[0:1], v[0:1], v[24:25]
	v_fma_f64 v[24:25], v[2:3], v[22:23], v[0:1]
	ds_read_b128 v[0:3], v164 offset:48000
	s_waitcnt lgkmcnt(0)
	v_mul_f64 v[4:5], v[2:3], v[30:31]
	v_fma_f64 v[26:27], v[0:1], v[28:29], -v[4:5]
	v_mul_f64 v[0:1], v[0:1], v[30:31]
	v_fma_f64 v[22:23], v[2:3], v[28:29], v[0:1]
	v_mov_b32_e32 v0, 41
	v_mul_lo_u16_sdwa v0, v134, v0 dst_sel:DWORD dst_unused:UNUSED_PAD src0_sel:BYTE_0 src1_sel:DWORD
	v_lshrrev_b16_e32 v119, 12, v0
	v_mul_lo_u16_e32 v0, 0x64, v119
	v_sub_u16_e32 v0, v134, v0
	v_and_b32_e32 v120, 0xff, v0
	v_mad_u64_u32 v[4:5], s[24:25], v120, s42, v[80:81]
	ds_read_b128 v[0:3], v164 offset:11520
	s_mov_b32 s25, 0xbfebb67a
	global_load_dwordx4 v[28:31], v[4:5], off offset:1440
	s_waitcnt vmcnt(0) lgkmcnt(0)
	v_mul_f64 v[6:7], v[2:3], v[30:31]
	v_fma_f64 v[32:33], v[0:1], v[28:29], -v[6:7]
	buffer_store_dword v28, off, s[44:47], 0 offset:1008 ; 4-byte Folded Spill
	s_nop 0
	buffer_store_dword v29, off, s[44:47], 0 offset:1012 ; 4-byte Folded Spill
	buffer_store_dword v30, off, s[44:47], 0 offset:1016 ; 4-byte Folded Spill
	;; [unrolled: 1-line block ×3, first 2 shown]
	v_mul_f64 v[0:1], v[0:1], v[30:31]
	v_fma_f64 v[34:35], v[2:3], v[28:29], v[0:1]
	global_load_dwordx4 v[28:31], v[4:5], off offset:1456
	s_waitcnt vmcnt(0)
	buffer_store_dword v28, off, s[44:47], 0 offset:1024 ; 4-byte Folded Spill
	s_nop 0
	buffer_store_dword v29, off, s[44:47], 0 offset:1028 ; 4-byte Folded Spill
	buffer_store_dword v30, off, s[44:47], 0 offset:1032 ; 4-byte Folded Spill
	buffer_store_dword v31, off, s[44:47], 0 offset:1036 ; 4-byte Folded Spill
	ds_read_b128 v[0:3], v164 offset:21120
	s_waitcnt lgkmcnt(0)
	v_mul_f64 v[6:7], v[2:3], v[30:31]
	v_fma_f64 v[36:37], v[0:1], v[28:29], -v[6:7]
	v_mul_f64 v[0:1], v[0:1], v[30:31]
	v_fma_f64 v[38:39], v[2:3], v[28:29], v[0:1]
	global_load_dwordx4 v[28:31], v[4:5], off offset:1472
	s_waitcnt vmcnt(0)
	buffer_store_dword v28, off, s[44:47], 0 offset:1040 ; 4-byte Folded Spill
	s_nop 0
	buffer_store_dword v29, off, s[44:47], 0 offset:1044 ; 4-byte Folded Spill
	buffer_store_dword v30, off, s[44:47], 0 offset:1048 ; 4-byte Folded Spill
	buffer_store_dword v31, off, s[44:47], 0 offset:1052 ; 4-byte Folded Spill
	ds_read_b128 v[0:3], v164 offset:30720
	s_waitcnt lgkmcnt(0)
	v_mul_f64 v[6:7], v[2:3], v[30:31]
	v_fma_f64 v[42:43], v[0:1], v[28:29], -v[6:7]
	;; [unrolled: 13-line block ×3, first 2 shown]
	v_mul_f64 v[0:1], v[0:1], v[30:31]
	v_fma_f64 v[46:47], v[2:3], v[28:29], v[0:1]
	global_load_dwordx4 v[28:31], v[4:5], off offset:1504
	ds_read_b128 v[0:3], v164 offset:49920
	s_waitcnt vmcnt(0) lgkmcnt(0)
	v_mul_f64 v[4:5], v[2:3], v[30:31]
	v_fma_f64 v[50:51], v[0:1], v[28:29], -v[4:5]
	buffer_store_dword v28, off, s[44:47], 0 offset:1072 ; 4-byte Folded Spill
	s_nop 0
	buffer_store_dword v29, off, s[44:47], 0 offset:1076 ; 4-byte Folded Spill
	buffer_store_dword v30, off, s[44:47], 0 offset:1080 ; 4-byte Folded Spill
	;; [unrolled: 1-line block ×3, first 2 shown]
	v_mul_f64 v[0:1], v[0:1], v[30:31]
	v_fma_f64 v[48:49], v[2:3], v[28:29], v[0:1]
	v_lshrrev_b16_e32 v0, 2, v133
	v_mul_u32_u24_e32 v0, 0x147b, v0
	v_lshrrev_b32_e32 v121, 17, v0
	v_mul_lo_u16_e32 v0, 0x64, v121
	v_sub_u16_e32 v122, v133, v0
	v_mul_lo_u16_e32 v0, 0x50, v122
	v_add_co_u32_e32 v4, vcc, s10, v0
	v_addc_co_u32_e32 v5, vcc, 0, v135, vcc
	global_load_dwordx4 v[28:31], v[4:5], off offset:1440
	ds_read_b128 v[0:3], v164 offset:13440
	s_waitcnt vmcnt(0) lgkmcnt(0)
	v_mul_f64 v[6:7], v[2:3], v[30:31]
	v_fma_f64 v[56:57], v[0:1], v[28:29], -v[6:7]
	buffer_store_dword v28, off, s[44:47], 0 offset:1088 ; 4-byte Folded Spill
	s_nop 0
	buffer_store_dword v29, off, s[44:47], 0 offset:1092 ; 4-byte Folded Spill
	buffer_store_dword v30, off, s[44:47], 0 offset:1096 ; 4-byte Folded Spill
	;; [unrolled: 1-line block ×3, first 2 shown]
	v_mul_f64 v[0:1], v[0:1], v[30:31]
	v_fma_f64 v[58:59], v[2:3], v[28:29], v[0:1]
	global_load_dwordx4 v[28:31], v[4:5], off offset:1456
	s_waitcnt vmcnt(0)
	buffer_store_dword v28, off, s[44:47], 0 offset:1104 ; 4-byte Folded Spill
	s_nop 0
	buffer_store_dword v29, off, s[44:47], 0 offset:1108 ; 4-byte Folded Spill
	buffer_store_dword v30, off, s[44:47], 0 offset:1112 ; 4-byte Folded Spill
	buffer_store_dword v31, off, s[44:47], 0 offset:1116 ; 4-byte Folded Spill
	ds_read_b128 v[0:3], v164 offset:23040
	s_waitcnt lgkmcnt(0)
	v_mul_f64 v[6:7], v[2:3], v[30:31]
	v_fma_f64 v[102:103], v[0:1], v[28:29], -v[6:7]
	v_mul_f64 v[0:1], v[0:1], v[30:31]
	v_fma_f64 v[104:105], v[2:3], v[28:29], v[0:1]
	global_load_dwordx4 v[28:31], v[4:5], off offset:1472
	s_waitcnt vmcnt(0)
	buffer_store_dword v28, off, s[44:47], 0 offset:1120 ; 4-byte Folded Spill
	s_nop 0
	buffer_store_dword v29, off, s[44:47], 0 offset:1124 ; 4-byte Folded Spill
	buffer_store_dword v30, off, s[44:47], 0 offset:1128 ; 4-byte Folded Spill
	buffer_store_dword v31, off, s[44:47], 0 offset:1132 ; 4-byte Folded Spill
	ds_read_b128 v[0:3], v164 offset:32640
	s_waitcnt lgkmcnt(0)
	v_mul_f64 v[6:7], v[2:3], v[30:31]
	v_fma_f64 v[108:109], v[0:1], v[28:29], -v[6:7]
	;; [unrolled: 13-line block ×4, first 2 shown]
	v_mul_f64 v[0:1], v[0:1], v[30:31]
	v_fma_f64 v[114:115], v[2:3], v[28:29], v[0:1]
	v_add_u16_e32 v0, 0x168, v192
	v_lshrrev_b16_e32 v1, 2, v0
	v_mul_u32_u24_e32 v1, 0x147b, v1
	v_lshrrev_b32_e32 v123, 17, v1
	v_mul_lo_u16_e32 v1, 0x64, v123
	v_sub_u16_e32 v126, v0, v1
	v_mul_lo_u16_e32 v0, 0x50, v126
	v_add_co_u32_e32 v4, vcc, s10, v0
	v_addc_co_u32_e32 v5, vcc, 0, v135, vcc
	global_load_dwordx4 v[28:31], v[4:5], off offset:1440
	ds_read_b128 v[0:3], v164 offset:15360
	s_waitcnt vmcnt(0) lgkmcnt(0)
	v_mul_f64 v[6:7], v[2:3], v[30:31]
	v_fma_f64 v[82:83], v[0:1], v[28:29], -v[6:7]
	buffer_store_dword v28, off, s[44:47], 0 offset:1172 ; 4-byte Folded Spill
	s_nop 0
	buffer_store_dword v29, off, s[44:47], 0 offset:1176 ; 4-byte Folded Spill
	buffer_store_dword v30, off, s[44:47], 0 offset:1180 ; 4-byte Folded Spill
	;; [unrolled: 1-line block ×3, first 2 shown]
	v_mul_f64 v[0:1], v[0:1], v[30:31]
	v_fma_f64 v[84:85], v[2:3], v[28:29], v[0:1]
	global_load_dwordx4 v[28:31], v[4:5], off offset:1456
	s_waitcnt vmcnt(0)
	buffer_store_dword v28, off, s[44:47], 0 offset:1188 ; 4-byte Folded Spill
	s_nop 0
	buffer_store_dword v29, off, s[44:47], 0 offset:1192 ; 4-byte Folded Spill
	buffer_store_dword v30, off, s[44:47], 0 offset:1196 ; 4-byte Folded Spill
	buffer_store_dword v31, off, s[44:47], 0 offset:1200 ; 4-byte Folded Spill
	ds_read_b128 v[0:3], v164 offset:24960
	s_waitcnt lgkmcnt(0)
	v_mul_f64 v[6:7], v[2:3], v[30:31]
	v_fma_f64 v[86:87], v[0:1], v[28:29], -v[6:7]
	v_mul_f64 v[0:1], v[0:1], v[30:31]
	v_fma_f64 v[88:89], v[2:3], v[28:29], v[0:1]
	global_load_dwordx4 v[28:31], v[4:5], off offset:1472
	s_waitcnt vmcnt(0)
	buffer_store_dword v28, off, s[44:47], 0 offset:1204 ; 4-byte Folded Spill
	s_nop 0
	buffer_store_dword v29, off, s[44:47], 0 offset:1208 ; 4-byte Folded Spill
	buffer_store_dword v30, off, s[44:47], 0 offset:1212 ; 4-byte Folded Spill
	buffer_store_dword v31, off, s[44:47], 0 offset:1216 ; 4-byte Folded Spill
	ds_read_b128 v[0:3], v164 offset:34560
	s_waitcnt lgkmcnt(0)
	v_mul_f64 v[6:7], v[2:3], v[30:31]
	v_fma_f64 v[92:93], v[0:1], v[28:29], -v[6:7]
	v_mul_f64 v[0:1], v[0:1], v[30:31]
	v_fma_f64 v[90:91], v[2:3], v[28:29], v[0:1]
	global_load_dwordx4 v[28:31], v[4:5], off offset:1488
	s_waitcnt vmcnt(0)
	buffer_store_dword v28, off, s[44:47], 0 offset:1220 ; 4-byte Folded Spill
	s_nop 0
	buffer_store_dword v29, off, s[44:47], 0 offset:1224 ; 4-byte Folded Spill
	buffer_store_dword v30, off, s[44:47], 0 offset:1228 ; 4-byte Folded Spill
	buffer_store_dword v31, off, s[44:47], 0 offset:1232 ; 4-byte Folded Spill
	ds_read_b128 v[0:3], v164 offset:44160
	s_waitcnt lgkmcnt(0)
	v_mul_f64 v[6:7], v[2:3], v[30:31]
	v_fma_f64 v[94:95], v[0:1], v[28:29], -v[6:7]
	v_mul_f64 v[0:1], v[0:1], v[30:31]
	v_fma_f64 v[96:97], v[2:3], v[28:29], v[0:1]
	global_load_dwordx4 v[28:31], v[4:5], off offset:1504
	ds_read_b128 v[0:3], v164 offset:53760
	s_waitcnt vmcnt(0) lgkmcnt(0)
	v_mul_f64 v[4:5], v[2:3], v[30:31]
	v_fma_f64 v[100:101], v[0:1], v[28:29], -v[4:5]
	buffer_store_dword v28, off, s[44:47], 0 offset:1300 ; 4-byte Folded Spill
	s_nop 0
	buffer_store_dword v29, off, s[44:47], 0 offset:1304 ; 4-byte Folded Spill
	buffer_store_dword v30, off, s[44:47], 0 offset:1308 ; 4-byte Folded Spill
	;; [unrolled: 1-line block ×4, first 2 shown]
	v_mul_f64 v[0:1], v[0:1], v[30:31]
	v_fma_f64 v[98:99], v[2:3], v[28:29], v[0:1]
	v_add_u16_e32 v0, 0x1e0, v192
	v_lshrrev_b16_e32 v1, 2, v0
	v_mul_u32_u24_e32 v1, 0x147b, v1
	v_lshrrev_b32_e32 v127, 17, v1
	v_mul_lo_u16_e32 v1, 0x64, v127
	v_sub_u16_e32 v128, v0, v1
	v_mul_lo_u16_e32 v0, 0x50, v128
	v_add_co_u32_e32 v4, vcc, s10, v0
	v_addc_co_u32_e32 v5, vcc, 0, v135, vcc
	global_load_dwordx4 v[248:251], v[4:5], off offset:1440
	global_load_dwordx4 v[244:247], v[4:5], off offset:1456
	;; [unrolled: 1-line block ×4, first 2 shown]
	ds_read_b128 v[0:3], v164 offset:17280
	global_load_dwordx4 v[232:235], v[4:5], off offset:1504
	s_mov_b32 s10, 0xe8584caa
	s_mov_b32 s11, 0x3febb67a
	;; [unrolled: 1-line block ×3, first 2 shown]
	v_cmp_lt_u16_e32 vcc, s43, v192
	s_movk_i32 s43, 0x258
	s_waitcnt vmcnt(4) lgkmcnt(0)
	v_mul_f64 v[6:7], v[2:3], v[250:251]
	v_fma_f64 v[60:61], v[0:1], v[248:249], -v[6:7]
	v_mul_f64 v[0:1], v[0:1], v[250:251]
	v_fma_f64 v[62:63], v[2:3], v[248:249], v[0:1]
	ds_read_b128 v[0:3], v164 offset:26880
	s_waitcnt vmcnt(3) lgkmcnt(0)
	v_mul_f64 v[6:7], v[2:3], v[246:247]
	v_fma_f64 v[64:65], v[0:1], v[244:245], -v[6:7]
	v_mul_f64 v[0:1], v[0:1], v[246:247]
	v_fma_f64 v[66:67], v[2:3], v[244:245], v[0:1]
	ds_read_b128 v[0:3], v164 offset:36480
	;; [unrolled: 6-line block ×4, first 2 shown]
	s_waitcnt vmcnt(0) lgkmcnt(0)
	v_mul_f64 v[4:5], v[2:3], v[234:235]
	v_fma_f64 v[78:79], v[0:1], v[232:233], -v[4:5]
	v_mul_f64 v[0:1], v[0:1], v[234:235]
	v_add_f64 v[4:5], v[12:13], v[20:21]
	v_fma_f64 v[76:77], v[2:3], v[232:233], v[0:1]
	ds_read_b128 v[0:3], v164
	s_waitcnt lgkmcnt(0)
	v_fma_f64 v[28:29], v[4:5], -0.5, v[0:1]
	v_add_f64 v[4:5], v[14:15], v[24:25]
	v_add_f64 v[0:1], v[0:1], v[12:13]
	v_fma_f64 v[30:31], v[4:5], -0.5, v[2:3]
	v_add_f64 v[2:3], v[2:3], v[14:15]
	v_add_f64 v[4:5], v[0:1], v[20:21]
	;; [unrolled: 1-line block ×3, first 2 shown]
	v_add_f64 v[20:21], v[12:13], -v[20:21]
	v_add_f64 v[6:7], v[2:3], v[24:25]
	v_add_f64 v[24:25], v[14:15], -v[24:25]
	v_add_f64 v[52:53], v[0:1], v[26:27]
	v_add_f64 v[0:1], v[10:11], v[16:17]
	;; [unrolled: 1-line block ×3, first 2 shown]
	v_add_f64 v[16:17], v[16:17], -v[22:23]
	v_add_f64 v[54:55], v[0:1], v[22:23]
	v_add_f64 v[0:1], v[4:5], v[52:53]
	v_add_f64 v[4:5], v[4:5], -v[52:53]
	v_fma_f64 v[52:53], v[14:15], -0.5, v[10:11]
	v_add_f64 v[10:11], v[18:19], v[26:27]
	v_add_f64 v[18:19], v[18:19], -v[26:27]
	v_add_f64 v[2:3], v[6:7], v[54:55]
	v_add_f64 v[6:7], v[6:7], -v[54:55]
	v_fma_f64 v[54:55], v[20:21], s[24:25], v[30:31]
	v_fma_f64 v[26:27], v[10:11], -0.5, v[8:9]
	v_fma_f64 v[8:9], v[18:19], s[24:25], v[52:53]
	v_fma_f64 v[18:19], v[18:19], s[10:11], v[52:53]
	;; [unrolled: 1-line block ×3, first 2 shown]
	v_mul_f64 v[12:13], v[8:9], s[10:11]
	v_fma_f64 v[16:17], v[16:17], s[24:25], v[26:27]
	v_fma_f64 v[26:27], v[20:21], s[10:11], v[30:31]
	v_fma_f64 v[22:23], v[10:11], 0.5, v[12:13]
	v_mul_f64 v[10:11], v[10:11], s[24:25]
	v_mul_f64 v[20:21], v[16:17], -0.5
	v_fma_f64 v[10:11], v[8:9], 0.5, v[10:11]
	v_fma_f64 v[8:9], v[24:25], s[10:11], v[28:29]
	v_fma_f64 v[24:25], v[24:25], s[24:25], v[28:29]
	;; [unrolled: 1-line block ×3, first 2 shown]
	v_mul_f64 v[18:19], v[18:19], -0.5
	v_add_f64 v[14:15], v[54:55], v[10:11]
	v_add_f64 v[12:13], v[8:9], v[22:23]
	v_add_f64 v[8:9], v[8:9], -v[22:23]
	v_add_f64 v[20:21], v[24:25], v[28:29]
	v_fma_f64 v[18:19], v[16:17], s[24:25], v[18:19]
	v_add_f64 v[16:17], v[24:25], -v[28:29]
	v_add_f64 v[28:29], v[36:37], v[44:45]
	v_add_f64 v[10:11], v[54:55], -v[10:11]
	v_add_f64 v[22:23], v[26:27], v[18:19]
	v_add_f64 v[18:19], v[26:27], -v[18:19]
	ds_read_b128 v[24:27], v164 offset:1920
	s_waitcnt lgkmcnt(0)
	v_fma_f64 v[52:53], v[28:29], -0.5, v[24:25]
	v_add_f64 v[28:29], v[38:39], v[46:47]
	v_add_f64 v[24:25], v[24:25], v[36:37]
	v_fma_f64 v[54:55], v[28:29], -0.5, v[26:27]
	v_add_f64 v[28:29], v[24:25], v[44:45]
	v_add_f64 v[24:25], v[32:33], v[42:43]
	v_add_f64 v[26:27], v[26:27], v[38:39]
	v_add_f64 v[44:45], v[36:37], -v[44:45]
	v_add_f64 v[124:125], v[24:25], v[50:51]
	v_add_f64 v[24:25], v[34:35], v[40:41]
	;; [unrolled: 1-line block ×3, first 2 shown]
	v_add_f64 v[46:47], v[38:39], -v[46:47]
	v_add_f64 v[129:130], v[24:25], v[48:49]
	v_add_f64 v[24:25], v[28:29], v[124:125]
	v_add_f64 v[28:29], v[28:29], -v[124:125]
	v_add_f64 v[124:125], v[40:41], v[48:49]
	v_add_f64 v[40:41], v[40:41], -v[48:49]
	;; [unrolled: 2-line block ×3, first 2 shown]
	v_fma_f64 v[129:130], v[44:45], s[24:25], v[54:55]
	v_fma_f64 v[124:125], v[124:125], -0.5, v[34:35]
	v_add_f64 v[34:35], v[42:43], v[50:51]
	v_add_f64 v[42:43], v[42:43], -v[50:51]
	v_fma_f64 v[50:51], v[34:35], -0.5, v[32:33]
	v_fma_f64 v[32:33], v[42:43], s[24:25], v[124:125]
	v_fma_f64 v[42:43], v[42:43], s[10:11], v[124:125]
	;; [unrolled: 1-line block ×3, first 2 shown]
	v_mul_f64 v[36:37], v[32:33], s[10:11]
	v_fma_f64 v[40:41], v[40:41], s[24:25], v[50:51]
	v_fma_f64 v[50:51], v[44:45], s[10:11], v[54:55]
	v_fma_f64 v[48:49], v[34:35], 0.5, v[36:37]
	v_mul_f64 v[34:35], v[34:35], s[24:25]
	v_mul_f64 v[44:45], v[40:41], -0.5
	v_fma_f64 v[34:35], v[32:33], 0.5, v[34:35]
	v_fma_f64 v[32:33], v[46:47], s[10:11], v[52:53]
	v_add_f64 v[38:39], v[129:130], v[34:35]
	v_add_f64 v[36:37], v[32:33], v[48:49]
	v_add_f64 v[32:33], v[32:33], -v[48:49]
	v_fma_f64 v[48:49], v[46:47], s[24:25], v[52:53]
	v_fma_f64 v[52:53], v[42:43], s[10:11], v[44:45]
	v_mul_f64 v[42:43], v[42:43], -0.5
	v_add_f64 v[34:35], v[129:130], -v[34:35]
	v_add_f64 v[44:45], v[48:49], v[52:53]
	v_fma_f64 v[42:43], v[40:41], s[24:25], v[42:43]
	v_add_f64 v[40:41], v[48:49], -v[52:53]
	v_add_f64 v[52:53], v[102:103], v[110:111]
	v_add_f64 v[46:47], v[50:51], v[42:43]
	v_add_f64 v[42:43], v[50:51], -v[42:43]
	ds_read_b128 v[48:51], v164 offset:3840
	s_waitcnt lgkmcnt(0)
	v_fma_f64 v[124:125], v[52:53], -0.5, v[48:49]
	v_add_f64 v[52:53], v[104:105], v[112:113]
	v_add_f64 v[48:49], v[48:49], v[102:103]
	v_fma_f64 v[129:130], v[52:53], -0.5, v[50:51]
	v_add_f64 v[52:53], v[48:49], v[110:111]
	v_add_f64 v[48:49], v[56:57], v[108:109]
	;; [unrolled: 1-line block ×3, first 2 shown]
	v_add_f64 v[110:111], v[102:103], -v[110:111]
	v_add_f64 v[133:134], v[48:49], v[116:117]
	v_add_f64 v[48:49], v[58:59], v[106:107]
	v_add_f64 v[54:55], v[50:51], v[112:113]
	v_add_f64 v[112:113], v[104:105], -v[112:113]
	v_add_f64 v[135:136], v[48:49], v[114:115]
	v_add_f64 v[48:49], v[52:53], v[133:134]
	v_add_f64 v[52:53], v[52:53], -v[133:134]
	v_add_f64 v[133:134], v[106:107], v[114:115]
	v_add_f64 v[106:107], v[106:107], -v[114:115]
	;; [unrolled: 2-line block ×3, first 2 shown]
	v_fma_f64 v[135:136], v[110:111], s[24:25], v[129:130]
	v_fma_f64 v[133:134], v[133:134], -0.5, v[58:59]
	v_add_f64 v[58:59], v[108:109], v[116:117]
	v_add_f64 v[108:109], v[108:109], -v[116:117]
	v_fma_f64 v[116:117], v[58:59], -0.5, v[56:57]
	v_fma_f64 v[56:57], v[108:109], s[24:25], v[133:134]
	v_fma_f64 v[108:109], v[108:109], s[10:11], v[133:134]
	;; [unrolled: 1-line block ×3, first 2 shown]
	v_mul_f64 v[102:103], v[56:57], s[10:11]
	v_fma_f64 v[106:107], v[106:107], s[24:25], v[116:117]
	v_fma_f64 v[114:115], v[58:59], 0.5, v[102:103]
	v_mul_f64 v[58:59], v[58:59], s[24:25]
	v_fma_f64 v[58:59], v[56:57], 0.5, v[58:59]
	v_fma_f64 v[56:57], v[112:113], s[10:11], v[124:125]
	v_fma_f64 v[112:113], v[112:113], s[24:25], v[124:125]
	v_add_f64 v[124:125], v[86:87], v[94:95]
	v_add_f64 v[104:105], v[135:136], v[58:59]
	;; [unrolled: 1-line block ×3, first 2 shown]
	v_add_f64 v[56:57], v[56:57], -v[114:115]
	v_fma_f64 v[114:115], v[110:111], s[10:11], v[129:130]
	v_mul_f64 v[110:111], v[106:107], -0.5
	v_add_f64 v[129:130], v[88:89], v[96:97]
	v_add_f64 v[58:59], v[135:136], -v[58:59]
	v_fma_f64 v[110:111], v[108:109], s[10:11], v[110:111]
	v_mul_f64 v[108:109], v[108:109], -0.5
	v_fma_f64 v[116:117], v[106:107], s[24:25], v[108:109]
	v_add_f64 v[106:107], v[112:113], v[110:111]
	v_add_f64 v[110:111], v[112:113], -v[110:111]
	v_add_f64 v[108:109], v[114:115], v[116:117]
	v_add_f64 v[112:113], v[114:115], -v[116:117]
	ds_read_b128 v[114:117], v164 offset:5760
	s_waitcnt lgkmcnt(0)
	v_fma_f64 v[124:125], v[124:125], -0.5, v[114:115]
	v_add_f64 v[114:115], v[114:115], v[86:87]
	v_fma_f64 v[129:130], v[129:130], -0.5, v[116:117]
	v_add_f64 v[116:117], v[116:117], v[88:89]
	v_add_f64 v[133:134], v[114:115], v[94:95]
	;; [unrolled: 1-line block ×4, first 2 shown]
	v_add_f64 v[96:97], v[88:89], -v[96:97]
	v_add_f64 v[94:95], v[86:87], -v[94:95]
	v_add_f64 v[137:138], v[114:115], v[100:101]
	v_add_f64 v[114:115], v[84:85], v[90:91]
	;; [unrolled: 1-line block ×4, first 2 shown]
	v_add_f64 v[133:134], v[133:134], -v[137:138]
	v_add_f64 v[137:138], v[90:91], v[98:99]
	v_add_f64 v[90:91], v[90:91], -v[98:99]
	v_fma_f64 v[98:99], v[96:97], s[10:11], v[124:125]
	v_fma_f64 v[96:97], v[96:97], s[24:25], v[124:125]
	v_add_f64 v[124:125], v[64:65], v[72:73]
	v_add_f64 v[116:117], v[135:136], v[139:140]
	v_add_f64 v[135:136], v[135:136], -v[139:140]
	v_fma_f64 v[139:140], v[94:95], s[24:25], v[129:130]
	v_fma_f64 v[137:138], v[137:138], -0.5, v[84:85]
	v_add_f64 v[84:85], v[92:93], v[100:101]
	v_add_f64 v[92:93], v[92:93], -v[100:101]
	v_fma_f64 v[100:101], v[84:85], -0.5, v[82:83]
	v_fma_f64 v[82:83], v[92:93], s[24:25], v[137:138]
	v_fma_f64 v[92:93], v[92:93], s[10:11], v[137:138]
	;; [unrolled: 1-line block ×3, first 2 shown]
	v_mul_f64 v[86:87], v[82:83], s[10:11]
	v_fma_f64 v[90:91], v[90:91], s[24:25], v[100:101]
	v_fma_f64 v[86:87], v[84:85], 0.5, v[86:87]
	v_mul_f64 v[84:85], v[84:85], s[24:25]
	v_fma_f64 v[88:89], v[82:83], 0.5, v[84:85]
	v_add_f64 v[82:83], v[98:99], v[86:87]
	v_add_f64 v[86:87], v[98:99], -v[86:87]
	v_fma_f64 v[98:99], v[94:95], s[10:11], v[129:130]
	v_mul_f64 v[94:95], v[90:91], -0.5
	v_add_f64 v[129:130], v[66:67], v[74:75]
	v_add_f64 v[84:85], v[139:140], v[88:89]
	v_add_f64 v[88:89], v[139:140], -v[88:89]
	v_fma_f64 v[94:95], v[92:93], s[10:11], v[94:95]
	v_mul_f64 v[92:93], v[92:93], -0.5
	v_fma_f64 v[100:101], v[90:91], s[24:25], v[92:93]
	v_add_f64 v[90:91], v[96:97], v[94:95]
	v_add_f64 v[94:95], v[96:97], -v[94:95]
	v_add_f64 v[92:93], v[98:99], v[100:101]
	v_add_f64 v[96:97], v[98:99], -v[100:101]
	ds_read_b128 v[98:101], v164 offset:7680
	s_waitcnt lgkmcnt(0)
	v_fma_f64 v[124:125], v[124:125], -0.5, v[98:99]
	v_add_f64 v[98:99], v[98:99], v[64:65]
	v_fma_f64 v[129:130], v[129:130], -0.5, v[100:101]
	v_add_f64 v[100:101], v[100:101], v[66:67]
	v_add_f64 v[137:138], v[98:99], v[72:73]
	;; [unrolled: 1-line block ×4, first 2 shown]
	v_add_f64 v[74:75], v[66:67], -v[74:75]
	v_add_f64 v[72:73], v[64:65], -v[72:73]
	v_add_f64 v[142:143], v[98:99], v[78:79]
	v_add_f64 v[98:99], v[62:63], v[68:69]
	;; [unrolled: 1-line block ×4, first 2 shown]
	v_add_f64 v[137:138], v[137:138], -v[142:143]
	v_add_f64 v[142:143], v[68:69], v[76:77]
	v_add_f64 v[68:69], v[68:69], -v[76:77]
	v_fma_f64 v[76:77], v[74:75], s[10:11], v[124:125]
	v_fma_f64 v[74:75], v[74:75], s[24:25], v[124:125]
	v_add_f64 v[100:101], v[139:140], v[144:145]
	v_add_f64 v[139:140], v[139:140], -v[144:145]
	v_fma_f64 v[144:145], v[72:73], s[24:25], v[129:130]
	v_fma_f64 v[142:143], v[142:143], -0.5, v[62:63]
	v_add_f64 v[62:63], v[70:71], v[78:79]
	v_add_f64 v[70:71], v[70:71], -v[78:79]
	v_fma_f64 v[78:79], v[62:63], -0.5, v[60:61]
	v_fma_f64 v[60:61], v[70:71], s[24:25], v[142:143]
	v_fma_f64 v[70:71], v[70:71], s[10:11], v[142:143]
	;; [unrolled: 1-line block ×3, first 2 shown]
	v_mul_f64 v[64:65], v[60:61], s[10:11]
	v_fma_f64 v[68:69], v[68:69], s[24:25], v[78:79]
	v_fma_f64 v[64:65], v[62:63], 0.5, v[64:65]
	v_mul_f64 v[62:63], v[62:63], s[24:25]
	v_fma_f64 v[66:67], v[60:61], 0.5, v[62:63]
	v_add_f64 v[60:61], v[76:77], v[64:65]
	v_add_f64 v[64:65], v[76:77], -v[64:65]
	v_fma_f64 v[76:77], v[72:73], s[10:11], v[129:130]
	v_mul_f64 v[72:73], v[68:69], -0.5
	v_add_f64 v[62:63], v[144:145], v[66:67]
	v_add_f64 v[66:67], v[144:145], -v[66:67]
	v_fma_f64 v[72:73], v[70:71], s[10:11], v[72:73]
	v_mul_f64 v[70:71], v[70:71], -0.5
	v_fma_f64 v[78:79], v[68:69], s[24:25], v[70:71]
	v_add_f64 v[68:69], v[74:75], v[72:73]
	v_add_f64 v[72:73], v[74:75], -v[72:73]
	v_add_f64 v[70:71], v[76:77], v[78:79]
	v_add_f64 v[74:75], v[76:77], -v[78:79]
	v_mov_b32_e32 v76, 0x258
	v_cndmask_b32_e32 v76, 0, v76, vcc
	v_add_lshl_u32 v76, v118, v76, 4
	buffer_store_dword v76, off, s[44:47], 0 offset:1392 ; 4-byte Folded Spill
	s_waitcnt vmcnt(0)
	s_barrier
	ds_write_b128 v76, v[0:3]
	ds_write_b128 v76, v[12:15] offset:1600
	ds_write_b128 v76, v[20:23] offset:3200
	;; [unrolled: 1-line block ×5, first 2 shown]
	v_mul_u32_u24_e32 v0, 0x258, v119
	v_add_lshl_u32 v0, v0, v120, 4
	buffer_store_dword v0, off, s[44:47], 0 offset:1388 ; 4-byte Folded Spill
	ds_write_b128 v0, v[24:27]
	ds_write_b128 v0, v[36:39] offset:1600
	ds_write_b128 v0, v[44:47] offset:3200
	ds_write_b128 v0, v[28:31] offset:4800
	ds_write_b128 v0, v[32:35] offset:6400
	ds_write_b128 v0, v[40:43] offset:8000
	v_mad_legacy_u16 v0, v121, s43, v122
	v_lshlrev_b32_e32 v0, 4, v0
	buffer_store_dword v0, off, s[44:47], 0 offset:1384 ; 4-byte Folded Spill
	ds_write_b128 v0, v[48:51]
	ds_write_b128 v0, v[102:105] offset:1600
	ds_write_b128 v0, v[106:109] offset:3200
	ds_write_b128 v0, v[52:55] offset:4800
	ds_write_b128 v0, v[56:59] offset:6400
	ds_write_b128 v0, v[110:113] offset:8000
	v_mad_legacy_u16 v0, v123, s43, v126
	v_lshlrev_b32_e32 v0, 4, v0
	;; [unrolled: 9-line block ×3, first 2 shown]
	buffer_store_dword v0, off, s[44:47], 0 offset:1168 ; 4-byte Folded Spill
	ds_write_b128 v0, v[98:101]
	ds_write_b128 v0, v[60:63] offset:1600
	ds_write_b128 v0, v[68:71] offset:3200
	;; [unrolled: 1-line block ×5, first 2 shown]
	v_mad_u64_u32 v[0:1], s[42:43], v192, s42, v[80:81]
	s_waitcnt vmcnt(0) lgkmcnt(0)
	s_barrier
	v_add_co_u32_e32 v6, vcc, s30, v0
	v_addc_co_u32_e32 v7, vcc, 0, v1, vcc
	global_load_dwordx4 v[10:13], v[6:7], off offset:1248
	ds_read_b128 v[2:5], v164 offset:9600
	s_movk_i32 s42, 0x24e0
	v_add_co_u32_e32 v20, vcc, s42, v0
	v_addc_co_u32_e32 v21, vcc, 0, v1, vcc
	s_movk_i32 s42, 0x4a60
	s_waitcnt vmcnt(0) lgkmcnt(0)
	v_mul_f64 v[8:9], v[4:5], v[12:13]
	v_fma_f64 v[8:9], v[2:3], v[10:11], -v[8:9]
	buffer_store_dword v10, off, s[44:47], 0 offset:1284 ; 4-byte Folded Spill
	s_nop 0
	buffer_store_dword v11, off, s[44:47], 0 offset:1288 ; 4-byte Folded Spill
	buffer_store_dword v12, off, s[44:47], 0 offset:1292 ; 4-byte Folded Spill
	;; [unrolled: 1-line block ×3, first 2 shown]
	global_load_dwordx4 v[14:17], v[20:21], off offset:16
	s_waitcnt vmcnt(0)
	buffer_store_dword v14, off, s[44:47], 0 offset:1316 ; 4-byte Folded Spill
	s_nop 0
	buffer_store_dword v15, off, s[44:47], 0 offset:1320 ; 4-byte Folded Spill
	buffer_store_dword v16, off, s[44:47], 0 offset:1324 ; 4-byte Folded Spill
	;; [unrolled: 1-line block ×3, first 2 shown]
	global_load_dwordx4 v[22:25], v[20:21], off offset:32
	v_mul_f64 v[2:3], v[2:3], v[12:13]
	v_fma_f64 v[10:11], v[4:5], v[10:11], v[2:3]
	ds_read_b128 v[2:5], v164 offset:19200
	s_waitcnt vmcnt(0)
	buffer_store_dword v22, off, s[44:47], 0 offset:1252 ; 4-byte Folded Spill
	s_nop 0
	buffer_store_dword v23, off, s[44:47], 0 offset:1256 ; 4-byte Folded Spill
	buffer_store_dword v24, off, s[44:47], 0 offset:1260 ; 4-byte Folded Spill
	;; [unrolled: 1-line block ×3, first 2 shown]
	s_waitcnt lgkmcnt(0)
	v_mul_f64 v[12:13], v[4:5], v[16:17]
	v_fma_f64 v[12:13], v[2:3], v[14:15], -v[12:13]
	v_mul_f64 v[2:3], v[2:3], v[16:17]
	v_fma_f64 v[14:15], v[4:5], v[14:15], v[2:3]
	ds_read_b128 v[2:5], v164 offset:28800
	s_waitcnt lgkmcnt(0)
	v_mul_f64 v[16:17], v[4:5], v[24:25]
	v_fma_f64 v[18:19], v[2:3], v[22:23], -v[16:17]
	v_mul_f64 v[2:3], v[2:3], v[24:25]
	v_fma_f64 v[16:17], v[4:5], v[22:23], v[2:3]
	global_load_dwordx4 v[22:25], v[20:21], off offset:48
	s_waitcnt vmcnt(0)
	buffer_store_dword v22, off, s[44:47], 0 offset:1268 ; 4-byte Folded Spill
	s_nop 0
	buffer_store_dword v23, off, s[44:47], 0 offset:1272 ; 4-byte Folded Spill
	buffer_store_dword v24, off, s[44:47], 0 offset:1276 ; 4-byte Folded Spill
	;; [unrolled: 1-line block ×3, first 2 shown]
	global_load_dwordx4 v[28:31], v[6:7], off offset:1312
	ds_read_b128 v[2:5], v164 offset:38400
	s_waitcnt vmcnt(0)
	buffer_store_dword v28, off, s[44:47], 0 offset:1236 ; 4-byte Folded Spill
	s_nop 0
	buffer_store_dword v29, off, s[44:47], 0 offset:1240 ; 4-byte Folded Spill
	buffer_store_dword v30, off, s[44:47], 0 offset:1244 ; 4-byte Folded Spill
	;; [unrolled: 1-line block ×3, first 2 shown]
	s_waitcnt lgkmcnt(0)
	v_mul_f64 v[20:21], v[4:5], v[24:25]
	v_fma_f64 v[20:21], v[2:3], v[22:23], -v[20:21]
	v_mul_f64 v[2:3], v[2:3], v[24:25]
	v_fma_f64 v[22:23], v[4:5], v[22:23], v[2:3]
	ds_read_b128 v[2:5], v164 offset:48000
	s_waitcnt lgkmcnt(0)
	v_mul_f64 v[6:7], v[4:5], v[30:31]
	v_fma_f64 v[26:27], v[2:3], v[28:29], -v[6:7]
	v_add_co_u32_e32 v6, vcc, s35, v0
	v_addc_co_u32_e32 v7, vcc, 0, v1, vcc
	global_load_dwordx4 v[34:37], v[6:7], off offset:2656
	v_mul_f64 v[2:3], v[2:3], v[30:31]
	v_fma_f64 v[24:25], v[4:5], v[28:29], v[2:3]
	ds_read_b128 v[2:5], v164 offset:11520
	s_waitcnt vmcnt(0) lgkmcnt(0)
	v_mul_f64 v[28:29], v[4:5], v[36:37]
	v_fma_f64 v[32:33], v[2:3], v[34:35], -v[28:29]
	v_add_co_u32_e32 v28, vcc, s42, v0
	buffer_store_dword v34, off, s[44:47], 0 offset:1348 ; 4-byte Folded Spill
	s_nop 0
	buffer_store_dword v35, off, s[44:47], 0 offset:1352 ; 4-byte Folded Spill
	buffer_store_dword v36, off, s[44:47], 0 offset:1356 ; 4-byte Folded Spill
	buffer_store_dword v37, off, s[44:47], 0 offset:1360 ; 4-byte Folded Spill
	v_addc_co_u32_e32 v29, vcc, 0, v1, vcc
	global_load_dwordx4 v[38:41], v[28:29], off offset:16
	s_waitcnt vmcnt(0)
	buffer_store_dword v38, off, s[44:47], 0 offset:1364 ; 4-byte Folded Spill
	s_nop 0
	buffer_store_dword v39, off, s[44:47], 0 offset:1368 ; 4-byte Folded Spill
	buffer_store_dword v40, off, s[44:47], 0 offset:1372 ; 4-byte Folded Spill
	buffer_store_dword v41, off, s[44:47], 0 offset:1376 ; 4-byte Folded Spill
	global_load_dwordx4 v[252:255], v[28:29], off offset:32
	global_load_dwordx4 v[46:49], v[28:29], off offset:48
	v_mul_f64 v[2:3], v[2:3], v[36:37]
	s_movk_i32 s42, 0x6fe0
	v_fma_f64 v[34:35], v[4:5], v[34:35], v[2:3]
	ds_read_b128 v[2:5], v164 offset:21120
	s_waitcnt lgkmcnt(0)
	v_mul_f64 v[30:31], v[4:5], v[40:41]
	v_fma_f64 v[36:37], v[2:3], v[38:39], -v[30:31]
	v_mul_f64 v[2:3], v[2:3], v[40:41]
	v_fma_f64 v[38:39], v[4:5], v[38:39], v[2:3]
	ds_read_b128 v[2:5], v164 offset:30720
	s_waitcnt vmcnt(0)
	buffer_store_dword v46, off, s[44:47], 0 offset:1332 ; 4-byte Folded Spill
	s_nop 0
	buffer_store_dword v47, off, s[44:47], 0 offset:1336 ; 4-byte Folded Spill
	buffer_store_dword v48, off, s[44:47], 0 offset:1340 ; 4-byte Folded Spill
	;; [unrolled: 1-line block ×3, first 2 shown]
	global_load_dwordx4 v[228:231], v[6:7], off offset:2720
	s_waitcnt lgkmcnt(0)
	v_mul_f64 v[30:31], v[4:5], v[254:255]
	v_fma_f64 v[42:43], v[2:3], v[252:253], -v[30:31]
	v_mul_f64 v[2:3], v[2:3], v[254:255]
	v_fma_f64 v[40:41], v[4:5], v[252:253], v[2:3]
	ds_read_b128 v[2:5], v164 offset:40320
	s_waitcnt lgkmcnt(0)
	v_mul_f64 v[28:29], v[4:5], v[48:49]
	v_fma_f64 v[44:45], v[2:3], v[46:47], -v[28:29]
	v_mul_f64 v[2:3], v[2:3], v[48:49]
	v_fma_f64 v[46:47], v[4:5], v[46:47], v[2:3]
	ds_read_b128 v[2:5], v164 offset:49920
	s_waitcnt vmcnt(0) lgkmcnt(0)
	v_mul_f64 v[6:7], v[4:5], v[230:231]
	v_fma_f64 v[50:51], v[2:3], v[228:229], -v[6:7]
	v_mul_f64 v[2:3], v[2:3], v[230:231]
	v_fma_f64 v[48:49], v[4:5], v[228:229], v[2:3]
	v_add_co_u32_e32 v2, vcc, s31, v0
	v_addc_co_u32_e32 v3, vcc, 0, v1, vcc
	global_load_dwordx4 v[224:227], v[2:3], off offset:4064
	ds_read_b128 v[2:5], v164 offset:13440
	s_waitcnt vmcnt(0) lgkmcnt(0)
	v_mul_f64 v[6:7], v[4:5], v[226:227]
	v_fma_f64 v[92:93], v[2:3], v[224:225], -v[6:7]
	v_add_co_u32_e32 v6, vcc, s42, v0
	v_addc_co_u32_e32 v7, vcc, 0, v1, vcc
	global_load_dwordx4 v[216:219], v[6:7], off offset:16
	global_load_dwordx4 v[220:223], v[6:7], off offset:32
	global_load_dwordx4 v[208:211], v[6:7], off offset:48
	v_mul_f64 v[2:3], v[2:3], v[226:227]
	s_mov_b32 s42, 0x9560
	v_fma_f64 v[94:95], v[4:5], v[224:225], v[2:3]
	ds_read_b128 v[2:5], v164 offset:23040
	s_waitcnt vmcnt(2) lgkmcnt(0)
	v_mul_f64 v[28:29], v[4:5], v[218:219]
	v_fma_f64 v[96:97], v[2:3], v[216:217], -v[28:29]
	v_mul_f64 v[2:3], v[2:3], v[218:219]
	v_fma_f64 v[100:101], v[4:5], v[216:217], v[2:3]
	ds_read_b128 v[2:5], v164 offset:32640
	s_waitcnt vmcnt(1) lgkmcnt(0)
	v_mul_f64 v[28:29], v[4:5], v[222:223]
	v_fma_f64 v[106:107], v[2:3], v[220:221], -v[28:29]
	v_mul_f64 v[2:3], v[2:3], v[222:223]
	;; [unrolled: 6-line block ×3, first 2 shown]
	v_fma_f64 v[110:111], v[4:5], v[208:209], v[2:3]
	v_add_co_u32_e32 v2, vcc, s37, v0
	v_addc_co_u32_e32 v3, vcc, 0, v1, vcc
	global_load_dwordx4 v[212:215], v[2:3], off offset:32
	ds_read_b128 v[2:5], v164 offset:51840
	s_waitcnt vmcnt(0) lgkmcnt(0)
	v_mul_f64 v[6:7], v[4:5], v[214:215]
	v_fma_f64 v[114:115], v[2:3], v[212:213], -v[6:7]
	v_add_co_u32_e32 v6, vcc, s39, v0
	v_addc_co_u32_e32 v7, vcc, 0, v1, vcc
	global_load_dwordx4 v[204:207], v[6:7], off offset:1376
	global_load_dwordx4 v[188:191], v[6:7], off offset:1440
	v_mul_f64 v[2:3], v[2:3], v[214:215]
	v_fma_f64 v[112:113], v[4:5], v[212:213], v[2:3]
	ds_read_b128 v[2:5], v164 offset:15360
	s_waitcnt vmcnt(1) lgkmcnt(0)
	v_mul_f64 v[28:29], v[4:5], v[206:207]
	v_fma_f64 v[68:69], v[2:3], v[204:205], -v[28:29]
	v_add_co_u32_e32 v28, vcc, s42, v0
	v_addc_co_u32_e32 v29, vcc, 0, v1, vcc
	global_load_dwordx4 v[196:199], v[28:29], off offset:16
	global_load_dwordx4 v[192:195], v[28:29], off offset:32
	;; [unrolled: 1-line block ×3, first 2 shown]
	v_mul_f64 v[2:3], v[2:3], v[206:207]
	s_mov_b32 s42, 0xbae0
	v_fma_f64 v[74:75], v[4:5], v[204:205], v[2:3]
	ds_read_b128 v[2:5], v164 offset:24960
	s_waitcnt vmcnt(2) lgkmcnt(0)
	v_mul_f64 v[30:31], v[4:5], v[198:199]
	v_fma_f64 v[76:77], v[2:3], v[196:197], -v[30:31]
	v_mul_f64 v[2:3], v[2:3], v[198:199]
	v_fma_f64 v[78:79], v[4:5], v[196:197], v[2:3]
	ds_read_b128 v[2:5], v164 offset:34560
	s_waitcnt vmcnt(1) lgkmcnt(0)
	v_mul_f64 v[30:31], v[4:5], v[194:195]
	v_fma_f64 v[84:85], v[2:3], v[192:193], -v[30:31]
	v_mul_f64 v[2:3], v[2:3], v[194:195]
	;; [unrolled: 6-line block ×3, first 2 shown]
	v_fma_f64 v[90:91], v[4:5], v[200:201], v[2:3]
	ds_read_b128 v[2:5], v164 offset:53760
	s_waitcnt lgkmcnt(0)
	v_mul_f64 v[6:7], v[4:5], v[190:191]
	v_fma_f64 v[102:103], v[2:3], v[188:189], -v[6:7]
	v_add_co_u32_e32 v6, vcc, s40, v0
	v_addc_co_u32_e32 v7, vcc, 0, v1, vcc
	global_load_dwordx4 v[180:183], v[6:7], off offset:2784
	v_mul_f64 v[2:3], v[2:3], v[190:191]
	global_load_dwordx4 v[184:187], v[6:7], off offset:2848
	v_add_f64 v[6:7], v[10:11], v[16:17]
	v_fma_f64 v[98:99], v[4:5], v[188:189], v[2:3]
	ds_read_b128 v[2:5], v164 offset:17280
	v_add_f64 v[6:7], v[6:7], v[24:25]
	s_waitcnt vmcnt(1) lgkmcnt(0)
	v_mul_f64 v[28:29], v[4:5], v[182:183]
	v_fma_f64 v[124:125], v[2:3], v[180:181], -v[28:29]
	v_mul_f64 v[2:3], v[2:3], v[182:183]
	v_fma_f64 v[126:127], v[4:5], v[180:181], v[2:3]
	v_add_co_u32_e32 v4, vcc, s42, v0
	v_addc_co_u32_e32 v5, vcc, 0, v1, vcc
	global_load_dwordx4 v[168:171], v[4:5], off offset:16
	global_load_dwordx4 v[172:175], v[4:5], off offset:32
	;; [unrolled: 1-line block ×3, first 2 shown]
	ds_read_b128 v[0:3], v164 offset:26880
	s_waitcnt vmcnt(2) lgkmcnt(0)
	v_mul_f64 v[28:29], v[2:3], v[170:171]
	v_fma_f64 v[60:61], v[0:1], v[168:169], -v[28:29]
	v_mul_f64 v[0:1], v[0:1], v[170:171]
	v_fma_f64 v[62:63], v[2:3], v[168:169], v[0:1]
	ds_read_b128 v[0:3], v164 offset:36480
	s_waitcnt vmcnt(1) lgkmcnt(0)
	v_mul_f64 v[28:29], v[2:3], v[174:175]
	v_fma_f64 v[66:67], v[0:1], v[172:173], -v[28:29]
	v_mul_f64 v[0:1], v[0:1], v[174:175]
	v_fma_f64 v[64:65], v[2:3], v[172:173], v[0:1]
	;; [unrolled: 6-line block ×3, first 2 shown]
	ds_read_b128 v[0:3], v164 offset:55680
	s_waitcnt lgkmcnt(0)
	v_mul_f64 v[4:5], v[2:3], v[186:187]
	v_fma_f64 v[86:87], v[0:1], v[184:185], -v[4:5]
	v_mul_f64 v[0:1], v[0:1], v[186:187]
	v_add_f64 v[4:5], v[12:13], v[20:21]
	v_fma_f64 v[82:83], v[2:3], v[184:185], v[0:1]
	ds_read_b128 v[0:3], v164
	s_waitcnt lgkmcnt(0)
	v_fma_f64 v[28:29], v[4:5], -0.5, v[0:1]
	v_add_f64 v[4:5], v[14:15], v[22:23]
	v_add_f64 v[0:1], v[0:1], v[12:13]
	v_fma_f64 v[30:31], v[4:5], -0.5, v[2:3]
	v_add_f64 v[4:5], v[8:9], v[18:19]
	v_add_f64 v[2:3], v[2:3], v[14:15]
	;; [unrolled: 1-line block ×3, first 2 shown]
	v_add_f64 v[20:21], v[12:13], -v[20:21]
	v_add_f64 v[4:5], v[4:5], v[26:27]
	v_add_f64 v[2:3], v[2:3], v[22:23]
	v_add_f64 v[22:23], v[14:15], -v[22:23]
	v_add_f64 v[56:57], v[0:1], v[4:5]
	v_add_f64 v[4:5], v[0:1], -v[4:5]
	v_add_f64 v[0:1], v[16:17], v[24:25]
	v_add_f64 v[58:59], v[2:3], v[6:7]
	v_add_f64 v[6:7], v[2:3], -v[6:7]
	v_add_f64 v[2:3], v[18:19], v[26:27]
	v_add_f64 v[18:19], v[18:19], -v[26:27]
	v_add_f64 v[16:17], v[16:17], -v[24:25]
	v_fma_f64 v[26:27], v[20:21], s[24:25], v[30:31]
	v_fma_f64 v[0:1], v[0:1], -0.5, v[10:11]
	v_fma_f64 v[2:3], v[2:3], -0.5, v[8:9]
	v_fma_f64 v[8:9], v[18:19], s[24:25], v[0:1]
	v_fma_f64 v[0:1], v[18:19], s[10:11], v[0:1]
	;; [unrolled: 1-line block ×5, first 2 shown]
	v_mul_f64 v[12:13], v[8:9], s[10:11]
	v_mul_f64 v[18:19], v[2:3], -0.5
	v_fma_f64 v[24:25], v[10:11], 0.5, v[12:13]
	v_mul_f64 v[10:11], v[10:11], s[24:25]
	v_fma_f64 v[18:19], v[0:1], s[10:11], v[18:19]
	v_mul_f64 v[0:1], v[0:1], -0.5
	v_fma_f64 v[10:11], v[8:9], 0.5, v[10:11]
	v_fma_f64 v[8:9], v[22:23], s[10:11], v[28:29]
	v_fma_f64 v[0:1], v[2:3], s[24:25], v[0:1]
	v_add_f64 v[2:3], v[38:39], v[46:47]
	v_add_f64 v[14:15], v[26:27], v[10:11]
	;; [unrolled: 1-line block ×3, first 2 shown]
	v_add_f64 v[8:9], v[8:9], -v[24:25]
	v_fma_f64 v[24:25], v[20:21], s[10:11], v[30:31]
	v_add_f64 v[20:21], v[16:17], v[18:19]
	v_add_f64 v[16:17], v[16:17], -v[18:19]
	v_add_f64 v[10:11], v[26:27], -v[10:11]
	v_add_f64 v[22:23], v[24:25], v[0:1]
	v_add_f64 v[18:19], v[24:25], -v[0:1]
	v_add_f64 v[0:1], v[36:37], v[44:45]
	ds_read_b128 v[24:27], v164 offset:1920
	s_waitcnt lgkmcnt(0)
	v_fma_f64 v[2:3], v[2:3], -0.5, v[26:27]
	v_add_f64 v[26:27], v[26:27], v[38:39]
	v_fma_f64 v[0:1], v[0:1], -0.5, v[24:25]
	v_add_f64 v[24:25], v[24:25], v[36:37]
	v_add_f64 v[30:31], v[26:27], v[46:47]
	v_add_f64 v[46:47], v[38:39], -v[46:47]
	v_add_f64 v[28:29], v[24:25], v[44:45]
	v_add_f64 v[24:25], v[32:33], v[42:43]
	v_add_f64 v[44:45], v[36:37], -v[44:45]
	v_add_f64 v[52:53], v[24:25], v[50:51]
	v_add_f64 v[24:25], v[34:35], v[40:41]
	;; [unrolled: 1-line block ×4, first 2 shown]
	v_add_f64 v[28:29], v[28:29], -v[52:53]
	v_add_f64 v[52:53], v[40:41], v[48:49]
	v_add_f64 v[40:41], v[40:41], -v[48:49]
	v_add_f64 v[26:27], v[30:31], v[54:55]
	v_add_f64 v[30:31], v[30:31], -v[54:55]
	v_fma_f64 v[54:55], v[44:45], s[24:25], v[2:3]
	v_fma_f64 v[52:53], v[52:53], -0.5, v[34:35]
	v_add_f64 v[34:35], v[42:43], v[50:51]
	v_add_f64 v[42:43], v[42:43], -v[50:51]
	v_fma_f64 v[2:3], v[44:45], s[10:11], v[2:3]
	v_fma_f64 v[50:51], v[34:35], -0.5, v[32:33]
	v_fma_f64 v[32:33], v[42:43], s[24:25], v[52:53]
	v_fma_f64 v[42:43], v[42:43], s[10:11], v[52:53]
	;; [unrolled: 1-line block ×3, first 2 shown]
	v_mul_f64 v[36:37], v[32:33], s[10:11]
	v_fma_f64 v[40:41], v[40:41], s[24:25], v[50:51]
	v_fma_f64 v[48:49], v[34:35], 0.5, v[36:37]
	v_mul_f64 v[34:35], v[34:35], s[24:25]
	v_mul_f64 v[44:45], v[40:41], -0.5
	v_fma_f64 v[34:35], v[32:33], 0.5, v[34:35]
	v_fma_f64 v[32:33], v[46:47], s[10:11], v[0:1]
	v_fma_f64 v[0:1], v[46:47], s[24:25], v[0:1]
	v_add_f64 v[38:39], v[54:55], v[34:35]
	v_add_f64 v[36:37], v[32:33], v[48:49]
	v_add_f64 v[32:33], v[32:33], -v[48:49]
	v_fma_f64 v[48:49], v[42:43], s[10:11], v[44:45]
	v_mul_f64 v[42:43], v[42:43], -0.5
	v_add_f64 v[34:35], v[54:55], -v[34:35]
	v_add_f64 v[44:45], v[0:1], v[48:49]
	v_fma_f64 v[42:43], v[40:41], s[24:25], v[42:43]
	v_add_f64 v[40:41], v[0:1], -v[48:49]
	v_add_f64 v[0:1], v[96:97], v[108:109]
	ds_read_b128 v[48:51], v164 offset:3840
	v_add_f64 v[46:47], v[2:3], v[42:43]
	v_add_f64 v[42:43], v[2:3], -v[42:43]
	s_waitcnt lgkmcnt(0)
	v_fma_f64 v[0:1], v[0:1], -0.5, v[48:49]
	v_add_f64 v[48:49], v[48:49], v[96:97]
	v_add_f64 v[2:3], v[100:101], v[110:111]
	v_add_f64 v[96:97], v[96:97], -v[108:109]
	v_add_f64 v[52:53], v[48:49], v[108:109]
	v_add_f64 v[48:49], v[92:93], v[106:107]
	v_fma_f64 v[2:3], v[2:3], -0.5, v[50:51]
	v_add_f64 v[50:51], v[50:51], v[100:101]
	v_add_f64 v[100:101], v[100:101], -v[110:111]
	v_add_f64 v[116:117], v[48:49], v[114:115]
	v_add_f64 v[48:49], v[94:95], v[104:105]
	;; [unrolled: 1-line block ×3, first 2 shown]
	v_add_f64 v[110:111], v[104:105], -v[112:113]
	v_add_f64 v[118:119], v[48:49], v[112:113]
	v_add_f64 v[48:49], v[52:53], v[116:117]
	v_add_f64 v[52:53], v[52:53], -v[116:117]
	v_add_f64 v[116:117], v[104:105], v[112:113]
	v_fma_f64 v[112:113], v[100:101], s[10:11], v[0:1]
	v_fma_f64 v[0:1], v[100:101], s[24:25], v[0:1]
	v_add_f64 v[50:51], v[54:55], v[118:119]
	v_add_f64 v[54:55], v[54:55], -v[118:119]
	v_fma_f64 v[118:119], v[96:97], s[24:25], v[2:3]
	v_fma_f64 v[116:117], v[116:117], -0.5, v[94:95]
	v_add_f64 v[94:95], v[106:107], v[114:115]
	v_add_f64 v[114:115], v[106:107], -v[114:115]
	v_fma_f64 v[2:3], v[96:97], s[10:11], v[2:3]
	v_fma_f64 v[108:109], v[94:95], -0.5, v[92:93]
	v_fma_f64 v[92:93], v[114:115], s[24:25], v[116:117]
	v_fma_f64 v[96:97], v[114:115], s[10:11], v[116:117]
	;; [unrolled: 1-line block ×4, first 2 shown]
	v_mul_f64 v[104:105], v[92:93], s[10:11]
	v_mul_f64 v[100:101], v[108:109], -0.5
	v_fma_f64 v[104:105], v[94:95], 0.5, v[104:105]
	v_mul_f64 v[94:95], v[94:95], s[24:25]
	v_fma_f64 v[100:101], v[96:97], s[10:11], v[100:101]
	v_mul_f64 v[96:97], v[96:97], -0.5
	v_fma_f64 v[106:107], v[92:93], 0.5, v[94:95]
	v_add_f64 v[92:93], v[112:113], v[104:105]
	v_add_f64 v[104:105], v[112:113], -v[104:105]
	v_add_f64 v[112:113], v[0:1], -v[100:101]
	v_fma_f64 v[96:97], v[108:109], s[24:25], v[96:97]
	v_add_f64 v[108:109], v[0:1], v[100:101]
	v_add_f64 v[0:1], v[76:77], v[88:89]
	;; [unrolled: 1-line block ×3, first 2 shown]
	v_add_f64 v[106:107], v[118:119], -v[106:107]
	ds_read_b128 v[116:119], v164 offset:5760
	v_add_f64 v[110:111], v[2:3], v[96:97]
	v_add_f64 v[114:115], v[2:3], -v[96:97]
	s_waitcnt lgkmcnt(0)
	v_fma_f64 v[0:1], v[0:1], -0.5, v[116:117]
	v_add_f64 v[96:97], v[116:117], v[76:77]
	v_add_f64 v[116:117], v[68:69], v[84:85]
	;; [unrolled: 1-line block ×7, first 2 shown]
	v_fma_f64 v[2:3], v[2:3], -0.5, v[118:119]
	v_add_f64 v[88:89], v[76:77], -v[88:89]
	v_add_f64 v[100:101], v[100:101], v[90:91]
	v_add_f64 v[90:91], v[78:79], -v[90:91]
	v_add_f64 v[122:123], v[116:117], v[98:99]
	v_add_f64 v[116:117], v[96:97], v[120:121]
	v_add_f64 v[120:121], v[96:97], -v[120:121]
	v_add_f64 v[96:97], v[80:81], v[98:99]
	v_add_f64 v[98:99], v[80:81], -v[98:99]
	;; [unrolled: 2-line block ×3, first 2 shown]
	v_fma_f64 v[100:101], v[90:91], s[10:11], v[0:1]
	v_fma_f64 v[96:97], v[96:97], -0.5, v[74:75]
	v_add_f64 v[74:75], v[84:85], v[102:103]
	v_add_f64 v[84:85], v[84:85], -v[102:103]
	v_fma_f64 v[102:103], v[88:89], s[24:25], v[2:3]
	v_fma_f64 v[2:3], v[88:89], s[10:11], v[2:3]
	;; [unrolled: 1-line block ×3, first 2 shown]
	v_fma_f64 v[68:69], v[74:75], -0.5, v[68:69]
	v_fma_f64 v[74:75], v[84:85], s[24:25], v[96:97]
	v_fma_f64 v[84:85], v[84:85], s[10:11], v[96:97]
	;; [unrolled: 1-line block ×4, first 2 shown]
	v_mul_f64 v[78:79], v[74:75], s[10:11]
	v_mul_f64 v[88:89], v[68:69], -0.5
	v_fma_f64 v[78:79], v[76:77], 0.5, v[78:79]
	v_mul_f64 v[76:77], v[76:77], s[24:25]
	v_fma_f64 v[96:97], v[84:85], s[10:11], v[88:89]
	v_mul_f64 v[84:85], v[84:85], -0.5
	v_fma_f64 v[80:81], v[74:75], 0.5, v[76:77]
	v_add_f64 v[74:75], v[100:101], v[78:79]
	v_add_f64 v[78:79], v[100:101], -v[78:79]
	v_add_f64 v[88:89], v[0:1], v[96:97]
	v_fma_f64 v[68:69], v[68:69], s[24:25], v[84:85]
	v_add_f64 v[96:97], v[0:1], -v[96:97]
	v_add_f64 v[0:1], v[60:61], v[70:71]
	v_add_f64 v[76:77], v[102:103], v[80:81]
	v_add_f64 v[80:81], v[102:103], -v[80:81]
	ds_read_b128 v[100:103], v164 offset:7680
	v_add_f64 v[90:91], v[2:3], v[68:69]
	v_add_f64 v[98:99], v[2:3], -v[68:69]
	s_waitcnt lgkmcnt(0)
	v_fma_f64 v[68:69], v[0:1], -0.5, v[100:101]
	v_add_f64 v[0:1], v[62:63], v[72:73]
	v_add_f64 v[2:3], v[102:103], v[62:63]
	v_fma_f64 v[84:85], v[0:1], -0.5, v[102:103]
	v_add_f64 v[0:1], v[100:101], v[60:61]
	v_add_f64 v[100:101], v[124:125], v[66:67]
	v_add_f64 v[2:3], v[2:3], v[72:73]
	v_add_f64 v[72:73], v[62:63], -v[72:73]
	v_add_f64 v[0:1], v[0:1], v[70:71]
	v_add_f64 v[128:129], v[100:101], v[86:87]
	;; [unrolled: 1-line block ×3, first 2 shown]
	v_add_f64 v[70:71], v[60:61], -v[70:71]
	v_add_f64 v[130:131], v[100:101], v[82:83]
	v_add_f64 v[100:101], v[0:1], v[128:129]
	v_add_f64 v[0:1], v[0:1], -v[128:129]
	v_add_f64 v[128:129], v[64:65], v[82:83]
	v_add_f64 v[82:83], v[64:65], -v[82:83]
	v_add_f64 v[102:103], v[2:3], v[130:131]
	v_add_f64 v[2:3], v[2:3], -v[130:131]
	v_fma_f64 v[130:131], v[70:71], s[24:25], v[84:85]
	v_fma_f64 v[126:127], v[128:129], -0.5, v[126:127]
	v_add_f64 v[128:129], v[66:67], v[86:87]
	v_add_f64 v[86:87], v[66:67], -v[86:87]
	v_fma_f64 v[84:85], v[70:71], s[10:11], v[84:85]
	v_fma_f64 v[124:125], v[128:129], -0.5, v[124:125]
	v_fma_f64 v[60:61], v[86:87], s[24:25], v[126:127]
	v_fma_f64 v[128:129], v[72:73], s[10:11], v[68:69]
	;; [unrolled: 1-line block ×6, first 2 shown]
	v_mul_f64 v[64:65], v[60:61], s[10:11]
	v_mul_f64 v[70:71], v[82:83], -0.5
	v_fma_f64 v[64:65], v[62:63], 0.5, v[64:65]
	v_mul_f64 v[62:63], v[62:63], s[24:25]
	v_fma_f64 v[86:87], v[68:69], s[10:11], v[70:71]
	v_mul_f64 v[68:69], v[68:69], -0.5
	v_fma_f64 v[66:67], v[60:61], 0.5, v[62:63]
	v_add_f64 v[60:61], v[128:129], v[64:65]
	v_add_f64 v[64:65], v[128:129], -v[64:65]
	v_fma_f64 v[124:125], v[82:83], s[24:25], v[68:69]
	v_add_f64 v[62:63], v[130:131], v[66:67]
	v_add_f64 v[66:67], v[130:131], -v[66:67]
	v_add_f64 v[68:69], v[72:73], v[86:87]
	v_add_f64 v[82:83], v[72:73], -v[86:87]
	v_add_f64 v[70:71], v[84:85], v[124:125]
	v_add_f64 v[84:85], v[84:85], -v[124:125]
	ds_write_b128 v164, v[56:59]
	ds_write_b128 v164, v[12:15] offset:9600
	ds_write_b128 v164, v[20:23] offset:19200
	ds_write_b128 v164, v[4:7] offset:28800
	ds_write_b128 v164, v[8:11] offset:38400
	ds_write_b128 v164, v[16:19] offset:48000
	ds_write_b128 v164, v[24:27] offset:1920
	ds_write_b128 v164, v[36:39] offset:11520
	ds_write_b128 v164, v[44:47] offset:21120
	ds_write_b128 v164, v[28:31] offset:30720
	ds_write_b128 v164, v[32:35] offset:40320
	ds_write_b128 v164, v[40:43] offset:49920
	ds_write_b128 v164, v[48:51] offset:3840
	ds_write_b128 v164, v[92:95] offset:13440
	ds_write_b128 v164, v[108:111] offset:23040
	ds_write_b128 v164, v[52:55] offset:32640
	ds_write_b128 v164, v[104:107] offset:42240
	ds_write_b128 v164, v[112:115] offset:51840
	ds_write_b128 v164, v[116:119] offset:5760
	ds_write_b128 v164, v[74:77] offset:15360
	ds_write_b128 v164, v[88:91] offset:24960
	ds_write_b128 v164, v[120:123] offset:34560
	ds_write_b128 v164, v[78:81] offset:44160
	ds_write_b128 v164, v[96:99] offset:53760
	ds_write_b128 v164, v[100:103] offset:7680
	ds_write_b128 v164, v[60:63] offset:17280
	ds_write_b128 v164, v[68:71] offset:26880
	ds_write_b128 v164, v[0:3] offset:36480
	ds_write_b128 v164, v[64:67] offset:46080
	ds_write_b128 v164, v[82:85] offset:55680
	s_waitcnt lgkmcnt(0)
	s_barrier
	global_load_dwordx4 v[0:3], v164, s[26:27]
	global_load_dwordx4 v[100:103], v164, s[26:27] offset:3840
	ds_read_b128 v[4:7], v164
	ds_read_b128 v[122:125], v164 offset:38400
	ds_read_b128 v[110:113], v164 offset:21120
	;; [unrolled: 1-line block ×3, first 2 shown]
	s_waitcnt vmcnt(1) lgkmcnt(3)
	v_mul_f64 v[8:9], v[6:7], v[2:3]
	v_mul_f64 v[2:3], v[4:5], v[2:3]
	v_fma_f64 v[126:127], v[4:5], v[0:1], -v[8:9]
	v_fma_f64 v[128:129], v[6:7], v[0:1], v[2:3]
	v_add_co_u32_e32 v0, vcc, s26, v164
	v_mov_b32_e32 v1, s27
	v_addc_co_u32_e32 v1, vcc, 0, v1, vcc
	v_add_co_u32_e32 v10, vcc, s29, v0
	v_addc_co_u32_e32 v11, vcc, 0, v1, vcc
	global_load_dwordx4 v[2:5], v[10:11], off offset:1664
	ds_read_b128 v[6:9], v164 offset:5760
	v_add_co_u32_e32 v84, vcc, s30, v0
	v_addc_co_u32_e32 v85, vcc, 0, v1, vcc
	s_waitcnt vmcnt(0) lgkmcnt(0)
	v_mul_f64 v[12:13], v[8:9], v[4:5]
	v_mul_f64 v[4:5], v[6:7], v[4:5]
	v_fma_f64 v[76:77], v[6:7], v[2:3], -v[12:13]
	v_fma_f64 v[78:79], v[8:9], v[2:3], v[4:5]
	global_load_dwordx4 v[2:5], v[84:85], off offset:3328
	ds_read_b128 v[6:9], v164 offset:11520
	s_waitcnt vmcnt(0) lgkmcnt(0)
	v_mul_f64 v[12:13], v[8:9], v[4:5]
	v_mul_f64 v[4:5], v[6:7], v[4:5]
	v_fma_f64 v[72:73], v[6:7], v[2:3], -v[12:13]
	v_add_co_u32_e32 v12, vcc, s35, v0
	v_addc_co_u32_e32 v13, vcc, 0, v1, vcc
	v_fma_f64 v[74:75], v[8:9], v[2:3], v[4:5]
	global_load_dwordx4 v[2:5], v[12:13], off offset:896
	ds_read_b128 v[6:9], v164 offset:17280
	v_add_co_u32_e32 v94, vcc, s36, v0
	v_addc_co_u32_e32 v95, vcc, 0, v1, vcc
	v_add_co_u32_e32 v92, vcc, s37, v0
	v_addc_co_u32_e32 v93, vcc, 0, v1, vcc
	s_waitcnt vmcnt(0) lgkmcnt(0)
	v_mul_f64 v[14:15], v[8:9], v[4:5]
	v_mul_f64 v[4:5], v[6:7], v[4:5]
	v_fma_f64 v[68:69], v[6:7], v[2:3], -v[14:15]
	v_fma_f64 v[70:71], v[8:9], v[2:3], v[4:5]
	global_load_dwordx4 v[2:5], v[94:95], off offset:2560
	ds_read_b128 v[6:9], v164 offset:23040
	s_waitcnt vmcnt(0) lgkmcnt(0)
	v_mul_f64 v[14:15], v[8:9], v[4:5]
	v_mul_f64 v[4:5], v[6:7], v[4:5]
	v_fma_f64 v[64:65], v[6:7], v[2:3], -v[14:15]
	v_fma_f64 v[66:67], v[8:9], v[2:3], v[4:5]
	global_load_dwordx4 v[2:5], v[92:93], off offset:128
	ds_read_b128 v[6:9], v164 offset:28800
	s_waitcnt vmcnt(0) lgkmcnt(0)
	v_mul_f64 v[14:15], v[8:9], v[4:5]
	v_mul_f64 v[4:5], v[6:7], v[4:5]
	v_fma_f64 v[60:61], v[6:7], v[2:3], -v[14:15]
	v_add_co_u32_e32 v14, vcc, s38, v0
	v_addc_co_u32_e32 v15, vcc, 0, v1, vcc
	v_fma_f64 v[62:63], v[8:9], v[2:3], v[4:5]
	global_load_dwordx4 v[2:5], v[14:15], off offset:1792
	ds_read_b128 v[6:9], v164 offset:34560
	v_add_co_u32_e32 v90, vcc, s39, v0
	v_addc_co_u32_e32 v91, vcc, 0, v1, vcc
	v_add_co_u32_e32 v80, vcc, s40, v0
	v_addc_co_u32_e32 v81, vcc, 0, v1, vcc
	;; [unrolled: 2-line block ×7, first 2 shown]
	s_waitcnt vmcnt(0) lgkmcnt(0)
	v_mul_f64 v[16:17], v[8:9], v[4:5]
	v_mul_f64 v[4:5], v[6:7], v[4:5]
	v_fma_f64 v[56:57], v[6:7], v[2:3], -v[16:17]
	v_fma_f64 v[58:59], v[8:9], v[2:3], v[4:5]
	global_load_dwordx4 v[2:5], v[90:91], off offset:3456
	ds_read_b128 v[6:9], v164 offset:40320
	s_waitcnt vmcnt(0) lgkmcnt(0)
	v_mul_f64 v[16:17], v[8:9], v[4:5]
	v_mul_f64 v[4:5], v[6:7], v[4:5]
	v_fma_f64 v[52:53], v[6:7], v[2:3], -v[16:17]
	v_fma_f64 v[54:55], v[8:9], v[2:3], v[4:5]
	global_load_dwordx4 v[2:5], v[80:81], off offset:1024
	ds_read_b128 v[6:9], v164 offset:46080
	;; [unrolled: 7-line block ×3, first 2 shown]
	s_waitcnt vmcnt(0) lgkmcnt(0)
	v_mul_f64 v[16:17], v[8:9], v[4:5]
	v_mul_f64 v[4:5], v[6:7], v[4:5]
	v_fma_f64 v[44:45], v[6:7], v[2:3], -v[16:17]
	v_fma_f64 v[46:47], v[8:9], v[2:3], v[4:5]
	global_load_dwordx4 v[2:5], v164, s[26:27] offset:1920
	ds_read_b128 v[6:9], v164 offset:1920
	s_waitcnt vmcnt(0) lgkmcnt(0)
	v_mul_f64 v[16:17], v[8:9], v[4:5]
	v_mul_f64 v[4:5], v[6:7], v[4:5]
	v_fma_f64 v[40:41], v[6:7], v[2:3], -v[16:17]
	v_fma_f64 v[42:43], v[8:9], v[2:3], v[4:5]
	global_load_dwordx4 v[2:5], v[10:11], off offset:3584
	ds_read_b128 v[6:9], v164 offset:7680
	s_waitcnt vmcnt(0) lgkmcnt(0)
	v_mul_f64 v[10:11], v[8:9], v[4:5]
	v_mul_f64 v[4:5], v[6:7], v[4:5]
	v_fma_f64 v[36:37], v[6:7], v[2:3], -v[10:11]
	v_fma_f64 v[38:39], v[8:9], v[2:3], v[4:5]
	global_load_dwordx4 v[2:5], v[104:105], off offset:1152
	;; [unrolled: 7-line block ×4, first 2 shown]
	ds_read_b128 v[6:9], v164 offset:24960
	s_waitcnt vmcnt(0) lgkmcnt(0)
	v_mul_f64 v[10:11], v[8:9], v[4:5]
	v_mul_f64 v[4:5], v[6:7], v[4:5]
	v_fma_f64 v[24:25], v[6:7], v[2:3], -v[10:11]
	v_fma_f64 v[26:27], v[8:9], v[2:3], v[4:5]
	global_load_dwordx4 v[2:5], v167, s[26:27]
	ds_read_b128 v[6:9], v164 offset:30720
	s_waitcnt vmcnt(0) lgkmcnt(0)
	v_mul_f64 v[10:11], v[8:9], v[4:5]
	v_mul_f64 v[4:5], v[6:7], v[4:5]
	v_fma_f64 v[20:21], v[6:7], v[2:3], -v[10:11]
	v_fma_f64 v[22:23], v[8:9], v[2:3], v[4:5]
	global_load_dwordx4 v[2:5], v[14:15], off offset:3712
	ds_read_b128 v[6:9], v164 offset:36480
	s_waitcnt vmcnt(0) lgkmcnt(0)
	v_mul_f64 v[10:11], v[8:9], v[4:5]
	v_mul_f64 v[4:5], v[6:7], v[4:5]
	v_fma_f64 v[16:17], v[6:7], v[2:3], -v[10:11]
	v_fma_f64 v[18:19], v[8:9], v[2:3], v[4:5]
	global_load_dwordx4 v[2:5], v[98:99], off offset:1280
	;; [unrolled: 7-line block ×4, first 2 shown]
	ds_read_b128 v[0:3], v164 offset:53760
	s_waitcnt vmcnt(0) lgkmcnt(0)
	v_mul_f64 v[4:5], v[2:3], v[82:83]
	v_mul_f64 v[6:7], v[0:1], v[82:83]
	v_fma_f64 v[4:5], v[0:1], v[80:81], -v[4:5]
	v_fma_f64 v[6:7], v[2:3], v[80:81], v[6:7]
	ds_read_b128 v[80:83], v164 offset:3840
	s_waitcnt lgkmcnt(0)
	v_mul_f64 v[0:1], v[82:83], v[102:103]
	v_mul_f64 v[2:3], v[80:81], v[102:103]
	v_fma_f64 v[80:81], v[80:81], v[100:101], -v[0:1]
	v_fma_f64 v[82:83], v[82:83], v[100:101], v[2:3]
	global_load_dwordx4 v[100:103], v[84:85], off offset:1408
	ds_read_b128 v[84:87], v164 offset:9600
	s_waitcnt vmcnt(0) lgkmcnt(0)
	v_mul_f64 v[0:1], v[86:87], v[102:103]
	v_mul_f64 v[2:3], v[84:85], v[102:103]
	v_fma_f64 v[84:85], v[84:85], v[100:101], -v[0:1]
	v_fma_f64 v[86:87], v[86:87], v[100:101], v[2:3]
	global_load_dwordx4 v[100:103], v[104:105], off offset:3072
	ds_read_b128 v[104:107], v164 offset:15360
	s_waitcnt vmcnt(0) lgkmcnt(0)
	v_mul_f64 v[0:1], v[106:107], v[102:103]
	v_mul_f64 v[2:3], v[104:105], v[102:103]
	v_fma_f64 v[102:103], v[104:105], v[100:101], -v[0:1]
	v_fma_f64 v[104:105], v[106:107], v[100:101], v[2:3]
	global_load_dwordx4 v[106:109], v[94:95], off offset:640
	s_nop 0
	global_load_dwordx4 v[98:101], v[98:99], off offset:3200
	s_waitcnt vmcnt(1)
	v_mul_f64 v[0:1], v[112:113], v[108:109]
	v_mul_f64 v[2:3], v[110:111], v[108:109]
	global_load_dwordx4 v[92:95], v[92:93], off offset:3968
	v_fma_f64 v[108:109], v[110:111], v[106:107], -v[0:1]
	v_fma_f64 v[110:111], v[112:113], v[106:107], v[2:3]
	global_load_dwordx4 v[112:115], v[114:115], off offset:2304
	s_waitcnt vmcnt(0)
	v_mul_f64 v[0:1], v[118:119], v[114:115]
	v_mul_f64 v[2:3], v[116:117], v[114:115]
	v_fma_f64 v[114:115], v[116:117], v[112:113], -v[0:1]
	v_fma_f64 v[116:117], v[118:119], v[112:113], v[2:3]
	ds_read_b128 v[118:121], v164 offset:32640
	s_waitcnt lgkmcnt(0)
	v_mul_f64 v[0:1], v[120:121], v[94:95]
	v_mul_f64 v[2:3], v[118:119], v[94:95]
	v_fma_f64 v[118:119], v[118:119], v[92:93], -v[0:1]
	v_fma_f64 v[120:121], v[120:121], v[92:93], v[2:3]
	global_load_dwordx4 v[90:93], v[90:91], off offset:1536
	s_waitcnt vmcnt(0)
	v_mul_f64 v[0:1], v[124:125], v[92:93]
	v_mul_f64 v[2:3], v[122:123], v[92:93]
	v_fma_f64 v[92:93], v[122:123], v[90:91], -v[0:1]
	v_fma_f64 v[94:95], v[124:125], v[90:91], v[2:3]
	global_load_dwordx4 v[88:91], v[88:89], off offset:768
	ds_read_b128 v[122:125], v164 offset:44160
	s_waitcnt lgkmcnt(0)
	v_mul_f64 v[0:1], v[124:125], v[100:101]
	v_mul_f64 v[2:3], v[122:123], v[100:101]
	v_fma_f64 v[122:123], v[122:123], v[98:99], -v[0:1]
	v_fma_f64 v[124:125], v[124:125], v[98:99], v[2:3]
	ds_read_b128 v[98:101], v164 offset:49920
	s_waitcnt vmcnt(0) lgkmcnt(0)
	v_mul_f64 v[0:1], v[100:101], v[90:91]
	v_mul_f64 v[2:3], v[98:99], v[90:91]
	v_fma_f64 v[98:99], v[98:99], v[88:89], -v[0:1]
	v_fma_f64 v[100:101], v[100:101], v[88:89], v[2:3]
	global_load_dwordx4 v[88:91], v[96:97], off offset:2432
	ds_read_b128 v[0:3], v164 offset:55680
	s_waitcnt vmcnt(0) lgkmcnt(0)
	v_mul_f64 v[96:97], v[2:3], v[90:91]
	v_mul_f64 v[90:91], v[0:1], v[90:91]
	v_fma_f64 v[0:1], v[0:1], v[88:89], -v[96:97]
	v_fma_f64 v[2:3], v[2:3], v[88:89], v[90:91]
	ds_write_b128 v164, v[126:129]
	ds_write_b128 v164, v[76:79] offset:5760
	ds_write_b128 v164, v[72:75] offset:11520
	;; [unrolled: 1-line block ×29, first 2 shown]
	s_waitcnt lgkmcnt(0)
	s_barrier
	ds_read_b128 v[0:3], v164
	ds_read_b128 v[4:7], v164 offset:11520
	ds_read_b128 v[8:11], v164 offset:23040
	s_waitcnt lgkmcnt(1)
	v_add_f64 v[12:13], v[0:1], v[4:5]
	s_waitcnt lgkmcnt(0)
	v_add_f64 v[24:25], v[4:5], -v[8:9]
	v_add_f64 v[26:27], v[8:9], -v[4:5]
	;; [unrolled: 1-line block ×4, first 2 shown]
	v_add_f64 v[16:17], v[12:13], v[8:9]
	v_add_f64 v[12:13], v[2:3], v[6:7]
	;; [unrolled: 1-line block ×3, first 2 shown]
	ds_read_b128 v[12:15], v164 offset:34560
	s_waitcnt lgkmcnt(0)
	v_add_f64 v[20:21], v[8:9], v[12:13]
	v_add_f64 v[22:23], v[10:11], -v[14:15]
	v_add_f64 v[28:29], v[10:11], v[14:15]
	v_add_f64 v[30:31], v[8:9], -v[12:13]
	ds_read_b128 v[8:11], v164 offset:46080
	v_fma_f64 v[20:21], v[20:21], -0.5, v[0:1]
	s_waitcnt lgkmcnt(0)
	v_add_f64 v[36:37], v[6:7], -v[10:11]
	v_add_f64 v[38:39], v[4:5], v[8:9]
	v_add_f64 v[40:41], v[4:5], -v[8:9]
	v_add_f64 v[42:43], v[6:7], v[10:11]
	v_add_f64 v[4:5], v[16:17], v[12:13]
	;; [unrolled: 1-line block ×3, first 2 shown]
	v_add_f64 v[44:45], v[8:9], -v[12:13]
	v_add_f64 v[46:47], v[12:13], -v[8:9]
	;; [unrolled: 1-line block ×4, first 2 shown]
	v_fma_f64 v[28:29], v[28:29], -0.5, v[2:3]
	v_fma_f64 v[2:3], v[42:43], -0.5, v[2:3]
	v_add_f64 v[52:53], v[4:5], v[8:9]
	v_add_f64 v[54:55], v[6:7], v[10:11]
	ds_read_b128 v[4:7], v164 offset:5760
	ds_read_b128 v[8:11], v164 offset:17280
	;; [unrolled: 1-line block ×3, first 2 shown]
	v_fma_f64 v[0:1], v[38:39], -0.5, v[0:1]
	v_add_f64 v[26:27], v[26:27], v[46:47]
	s_waitcnt lgkmcnt(1)
	v_add_f64 v[16:17], v[4:5], v[8:9]
	s_waitcnt lgkmcnt(0)
	v_add_f64 v[64:65], v[8:9], -v[12:13]
	v_add_f64 v[66:67], v[12:13], -v[8:9]
	;; [unrolled: 1-line block ×4, first 2 shown]
	v_add_f64 v[56:57], v[16:17], v[12:13]
	v_add_f64 v[16:17], v[6:7], v[10:11]
	;; [unrolled: 1-line block ×3, first 2 shown]
	ds_read_b128 v[16:19], v164 offset:40320
	s_waitcnt lgkmcnt(0)
	v_add_f64 v[68:69], v[14:15], v[18:19]
	v_add_f64 v[56:57], v[56:57], v[16:17]
	;; [unrolled: 1-line block ×3, first 2 shown]
	v_add_f64 v[62:63], v[14:15], -v[18:19]
	v_add_f64 v[70:71], v[12:13], -v[16:17]
	ds_read_b128 v[12:15], v164 offset:51840
	v_add_f64 v[58:59], v[58:59], v[18:19]
	v_fma_f64 v[42:43], v[68:69], -0.5, v[6:7]
	s_waitcnt lgkmcnt(0)
	v_add_f64 v[78:79], v[8:9], v[12:13]
	v_add_f64 v[8:9], v[8:9], -v[12:13]
	v_add_f64 v[80:81], v[12:13], -v[16:17]
	;; [unrolled: 1-line block ×3, first 2 shown]
	v_add_f64 v[12:13], v[56:57], v[12:13]
	v_add_f64 v[76:77], v[10:11], -v[14:15]
	v_add_f64 v[10:11], v[10:11], v[14:15]
	v_add_f64 v[82:83], v[14:15], -v[18:19]
	v_fma_f64 v[38:39], v[60:61], -0.5, v[4:5]
	v_add_f64 v[18:19], v[18:19], -v[14:15]
	v_add_f64 v[14:15], v[58:59], v[14:15]
	v_fma_f64 v[4:5], v[78:79], -0.5, v[4:5]
	v_add_f64 v[116:117], v[52:53], v[12:13]
	v_add_f64 v[112:113], v[52:53], -v[12:13]
	v_add_f64 v[12:13], v[32:33], v[48:49]
	v_fma_f64 v[32:33], v[8:9], s[6:7], v[42:43]
	v_fma_f64 v[6:7], v[10:11], -0.5, v[6:7]
	v_add_f64 v[10:11], v[24:25], v[44:45]
	v_add_f64 v[24:25], v[72:73], v[82:83]
	v_fma_f64 v[44:45], v[76:77], s[12:13], v[38:39]
	v_add_f64 v[118:119], v[54:55], v[14:15]
	v_add_f64 v[114:115], v[54:55], -v[14:15]
	v_add_f64 v[14:15], v[64:65], v[80:81]
	v_fma_f64 v[32:33], v[70:71], s[8:9], v[32:33]
	v_fma_f64 v[52:53], v[40:41], s[6:7], v[28:29]
	v_add_f64 v[18:19], v[74:75], v[18:19]
	v_add_f64 v[16:17], v[66:67], v[16:17]
	v_fma_f64 v[44:45], v[62:63], s[16:17], v[44:45]
	v_fma_f64 v[32:33], v[24:25], s[14:15], v[32:33]
	;; [unrolled: 1-line block ×4, first 2 shown]
	v_mul_f64 v[48:49], v[32:33], s[16:17]
	v_fma_f64 v[52:53], v[12:13], s[14:15], v[52:53]
	v_fma_f64 v[48:49], v[44:45], s[22:23], v[48:49]
	v_mul_f64 v[44:45], v[44:45], s[8:9]
	v_fma_f64 v[32:33], v[32:33], s[22:23], v[44:45]
	v_fma_f64 v[44:45], v[36:37], s[12:13], v[20:21]
	v_add_f64 v[106:107], v[52:53], v[32:33]
	v_fma_f64 v[44:45], v[22:23], s[16:17], v[44:45]
	v_add_f64 v[110:111], v[52:53], -v[32:33]
	v_add_f64 v[32:33], v[34:35], v[50:51]
	v_fma_f64 v[34:35], v[70:71], s[12:13], v[6:7]
	v_fma_f64 v[6:7], v[70:71], s[6:7], v[6:7]
	;; [unrolled: 1-line block ×5, first 2 shown]
	v_add_f64 v[104:105], v[44:45], v[48:49]
	v_add_f64 v[108:109], v[44:45], -v[48:49]
	v_fma_f64 v[44:45], v[62:63], s[6:7], v[4:5]
	v_fma_f64 v[34:35], v[18:19], s[14:15], v[34:35]
	;; [unrolled: 1-line block ×7, first 2 shown]
	v_mul_f64 v[46:47], v[34:35], s[12:13]
	v_mul_f64 v[34:35], v[34:35], s[14:15]
	v_fma_f64 v[4:5], v[76:77], s[8:9], v[4:5]
	v_fma_f64 v[48:49], v[40:41], s[8:9], v[48:49]
	;; [unrolled: 1-line block ×5, first 2 shown]
	v_mul_f64 v[16:17], v[6:7], s[12:13]
	v_mul_f64 v[6:7], v[6:7], s[20:21]
	v_fma_f64 v[2:3], v[32:33], s[14:15], v[2:3]
	v_fma_f64 v[48:49], v[32:33], s[14:15], v[48:49]
	;; [unrolled: 1-line block ×9, first 2 shown]
	v_add_f64 v[98:99], v[48:49], v[34:35]
	v_fma_f64 v[44:45], v[36:37], s[16:17], v[44:45]
	v_fma_f64 v[0:1], v[36:37], s[8:9], v[0:1]
	v_add_f64 v[102:103], v[48:49], -v[34:35]
	v_add_f64 v[90:91], v[2:3], v[4:5]
	v_add_f64 v[94:95], v[2:3], -v[4:5]
	v_fma_f64 v[2:3], v[36:37], s[6:7], v[20:21]
	v_fma_f64 v[4:5], v[40:41], s[12:13], v[28:29]
	;; [unrolled: 1-line block ×8, first 2 shown]
	v_add_f64 v[96:97], v[44:45], v[46:47]
	v_add_f64 v[88:89], v[0:1], v[16:17]
	v_add_f64 v[92:93], v[0:1], -v[16:17]
	v_fma_f64 v[0:1], v[8:9], s[12:13], v[42:43]
	v_add_f64 v[100:101], v[44:45], -v[46:47]
	v_fma_f64 v[2:3], v[10:11], s[14:15], v[2:3]
	v_fma_f64 v[4:5], v[12:13], s[14:15], v[4:5]
	;; [unrolled: 1-line block ×4, first 2 shown]
	v_mul_f64 v[8:9], v[0:1], s[16:17]
	v_mul_f64 v[0:1], v[0:1], s[18:19]
	v_fma_f64 v[8:9], v[6:7], s[18:19], v[8:9]
	v_fma_f64 v[0:1], v[6:7], s[8:9], v[0:1]
	v_add_f64 v[80:81], v[2:3], v[8:9]
	v_add_f64 v[82:83], v[4:5], v[0:1]
	v_add_f64 v[84:85], v[2:3], -v[8:9]
	v_add_f64 v[86:87], v[4:5], -v[0:1]
	ds_read_b128 v[72:75], v164 offset:1920
	ds_read_b128 v[68:71], v164 offset:7680
	;; [unrolled: 1-line block ×20, first 2 shown]
	s_waitcnt lgkmcnt(0)
	s_barrier
	ds_write_b128 v150, v[116:119]
	ds_write_b128 v150, v[104:107] offset:16
	ds_write_b128 v150, v[96:99] offset:32
	;; [unrolled: 1-line block ×9, first 2 shown]
	v_add_f64 v[80:81], v[72:73], v[4:5]
	v_add_f64 v[82:83], v[74:75], v[6:7]
	;; [unrolled: 1-line block ×3, first 2 shown]
	v_add_f64 v[86:87], v[2:3], -v[10:11]
	v_add_f64 v[88:89], v[4:5], -v[0:1]
	;; [unrolled: 1-line block ×3, first 2 shown]
	v_add_f64 v[92:93], v[2:3], v[10:11]
	v_add_f64 v[94:95], v[0:1], -v[8:9]
	v_add_f64 v[80:81], v[80:81], v[0:1]
	v_add_f64 v[82:83], v[82:83], v[2:3]
	v_add_f64 v[96:97], v[6:7], -v[2:3]
	v_add_f64 v[98:99], v[2:3], -v[6:7]
	;; [unrolled: 1-line block ×3, first 2 shown]
	v_add_f64 v[0:1], v[4:5], v[12:13]
	v_add_f64 v[102:103], v[4:5], -v[12:13]
	v_add_f64 v[2:3], v[6:7], v[14:15]
	v_add_f64 v[4:5], v[80:81], v[8:9]
	;; [unrolled: 1-line block ×3, first 2 shown]
	v_add_f64 v[80:81], v[12:13], -v[8:9]
	v_add_f64 v[82:83], v[8:9], -v[12:13]
	;; [unrolled: 1-line block ×4, first 2 shown]
	v_add_f64 v[10:11], v[68:69], v[20:21]
	v_add_f64 v[112:113], v[18:19], v[78:79]
	;; [unrolled: 1-line block ×6, first 2 shown]
	v_add_f64 v[106:107], v[18:19], -v[78:79]
	v_add_f64 v[108:109], v[20:21], -v[16:17]
	v_add_f64 v[10:11], v[10:11], v[16:17]
	v_add_f64 v[110:111], v[16:17], -v[20:21]
	v_add_f64 v[114:115], v[16:17], -v[76:77]
	v_add_f64 v[12:13], v[12:13], v[18:19]
	v_add_f64 v[16:17], v[22:23], -v[18:19]
	v_add_f64 v[18:19], v[18:19], -v[22:23]
	;; [unrolled: 1-line block ×3, first 2 shown]
	v_add_f64 v[118:119], v[20:21], v[24:25]
	v_add_f64 v[10:11], v[10:11], v[76:77]
	v_add_f64 v[120:121], v[20:21], -v[24:25]
	v_add_f64 v[20:21], v[22:23], v[26:27]
	v_add_f64 v[12:13], v[12:13], v[78:79]
	v_add_f64 v[22:23], v[24:25], -v[76:77]
	v_add_f64 v[76:77], v[76:77], -v[24:25]
	v_fma_f64 v[84:85], v[84:85], -0.5, v[72:73]
	v_add_f64 v[122:123], v[26:27], -v[78:79]
	v_add_f64 v[10:11], v[10:11], v[24:25]
	v_fma_f64 v[24:25], v[0:1], -0.5, v[72:73]
	v_fma_f64 v[72:73], v[92:93], -0.5, v[74:75]
	;; [unrolled: 1-line block ×3, first 2 shown]
	v_add_f64 v[78:79], v[78:79], -v[26:27]
	v_add_f64 v[12:13], v[12:13], v[26:27]
	v_fma_f64 v[26:27], v[2:3], -0.5, v[74:75]
	v_fma_f64 v[74:75], v[14:15], -0.5, v[68:69]
	v_add_f64 v[80:81], v[88:89], v[80:81]
	v_add_f64 v[88:89], v[96:97], v[8:9]
	;; [unrolled: 1-line block ×3, first 2 shown]
	v_fma_f64 v[8:9], v[120:121], s[6:7], v[92:93]
	v_add_f64 v[4:5], v[4:5], -v[10:11]
	v_add_f64 v[96:97], v[108:109], v[22:23]
	v_add_f64 v[108:109], v[16:17], v[122:123]
	v_fma_f64 v[10:11], v[116:117], s[12:13], v[74:75]
	v_add_f64 v[2:3], v[6:7], v[12:13]
	v_add_f64 v[6:7], v[6:7], -v[12:13]
	v_fma_f64 v[70:71], v[20:21], -0.5, v[70:71]
	v_fma_f64 v[8:9], v[114:115], s[8:9], v[8:9]
	v_fma_f64 v[68:69], v[118:119], -0.5, v[68:69]
	v_add_f64 v[78:79], v[18:19], v[78:79]
	v_add_f64 v[76:77], v[110:111], v[76:77]
	v_fma_f64 v[10:11], v[106:107], s[16:17], v[10:11]
	v_add_f64 v[82:83], v[90:91], v[82:83]
	v_add_f64 v[90:91], v[98:99], v[104:105]
	v_fma_f64 v[74:75], v[116:117], s[6:7], v[74:75]
	v_fma_f64 v[8:9], v[108:109], s[14:15], v[8:9]
	;; [unrolled: 1-line block ×5, first 2 shown]
	v_mul_f64 v[12:13], v[8:9], s[16:17]
	v_fma_f64 v[18:19], v[116:117], s[16:17], v[18:19]
	v_fma_f64 v[12:13], v[10:11], s[22:23], v[12:13]
	v_mul_f64 v[10:11], v[10:11], s[8:9]
	v_fma_f64 v[18:19], v[76:77], s[14:15], v[18:19]
	v_fma_f64 v[14:15], v[8:9], s[22:23], v[10:11]
	;; [unrolled: 1-line block ×10, first 2 shown]
	v_add_f64 v[8:9], v[16:17], v[12:13]
	v_add_f64 v[12:13], v[16:17], -v[12:13]
	v_fma_f64 v[16:17], v[114:115], s[12:13], v[70:71]
	v_add_f64 v[10:11], v[20:21], v[14:15]
	v_add_f64 v[14:15], v[20:21], -v[14:15]
	v_fma_f64 v[16:17], v[120:121], s[8:9], v[16:17]
	v_fma_f64 v[16:17], v[78:79], s[14:15], v[16:17]
	v_mul_f64 v[20:21], v[16:17], s[12:13]
	v_mul_f64 v[16:17], v[16:17], s[14:15]
	v_fma_f64 v[20:21], v[18:19], s[14:15], v[20:21]
	v_fma_f64 v[22:23], v[18:19], s[6:7], v[16:17]
	v_fma_f64 v[16:17], v[86:87], s[6:7], v[24:25]
	v_fma_f64 v[24:25], v[86:87], s[12:13], v[24:25]
	v_fma_f64 v[18:19], v[94:95], s[12:13], v[26:27]
	v_fma_f64 v[16:17], v[100:101], s[16:17], v[16:17]
	v_fma_f64 v[24:25], v[100:101], s[8:9], v[24:25]
	v_fma_f64 v[18:19], v[102:103], s[8:9], v[18:19]
	v_fma_f64 v[98:99], v[82:83], s[14:15], v[16:17]
	v_fma_f64 v[82:83], v[82:83], s[14:15], v[24:25]
	v_fma_f64 v[24:25], v[94:95], s[6:7], v[26:27]
	v_fma_f64 v[26:27], v[106:107], s[12:13], v[68:69]
	v_fma_f64 v[104:105], v[90:91], s[14:15], v[18:19]
	v_add_f64 v[16:17], v[98:99], v[20:21]
	v_add_f64 v[20:21], v[98:99], -v[20:21]
	v_fma_f64 v[24:25], v[102:103], s[16:17], v[24:25]
	v_fma_f64 v[26:27], v[116:117], s[8:9], v[26:27]
	v_add_f64 v[18:19], v[104:105], v[22:23]
	v_add_f64 v[22:23], v[104:105], -v[22:23]
	v_fma_f64 v[90:91], v[90:91], s[14:15], v[24:25]
	v_fma_f64 v[24:25], v[114:115], s[6:7], v[70:71]
	v_fma_f64 v[26:27], v[76:77], s[14:15], v[26:27]
	v_fma_f64 v[76:77], v[120:121], s[12:13], v[92:93]
	v_fma_f64 v[24:25], v[120:121], s[16:17], v[24:25]
	v_fma_f64 v[76:77], v[114:115], s[16:17], v[76:77]
	v_fma_f64 v[24:25], v[78:79], s[14:15], v[24:25]
	v_fma_f64 v[78:79], v[100:101], s[6:7], v[84:85]
	v_fma_f64 v[76:77], v[108:109], s[14:15], v[76:77]
	v_mul_f64 v[68:69], v[24:25], s[12:13]
	v_fma_f64 v[78:79], v[86:87], s[8:9], v[78:79]
	v_mul_f64 v[24:25], v[24:25], s[20:21]
	v_fma_f64 v[68:69], v[26:27], s[20:21], v[68:69]
	v_fma_f64 v[78:79], v[80:81], s[14:15], v[78:79]
	;; [unrolled: 1-line block ×4, first 2 shown]
	v_mul_f64 v[74:75], v[76:77], s[16:17]
	v_mul_f64 v[76:77], v[76:77], s[18:19]
	v_fma_f64 v[70:71], v[26:27], s[6:7], v[24:25]
	v_add_f64 v[24:25], v[82:83], v[68:69]
	v_add_f64 v[68:69], v[82:83], -v[68:69]
	v_fma_f64 v[82:83], v[72:73], s[18:19], v[74:75]
	v_fma_f64 v[84:85], v[72:73], s[8:9], v[76:77]
	v_add_f64 v[26:27], v[90:91], v[70:71]
	v_add_f64 v[70:71], v[90:91], -v[70:71]
	v_add_f64 v[72:73], v[78:79], v[82:83]
	v_add_f64 v[74:75], v[80:81], v[84:85]
	v_add_f64 v[76:77], v[78:79], -v[82:83]
	v_add_f64 v[78:79], v[80:81], -v[84:85]
	ds_write_b128 v132, v[0:3]
	ds_write_b128 v132, v[8:11] offset:16
	ds_write_b128 v132, v[16:19] offset:32
	;; [unrolled: 1-line block ×9, first 2 shown]
	v_add_f64 v[0:1], v[60:61], v[32:33]
	v_add_f64 v[2:3], v[62:63], v[34:35]
	v_add_f64 v[8:9], v[32:33], -v[36:37]
	v_add_f64 v[16:17], v[36:37], -v[32:33]
	v_add_f64 v[12:13], v[32:33], v[28:29]
	v_add_f64 v[32:33], v[32:33], -v[28:29]
	v_add_f64 v[20:21], v[28:29], -v[40:41]
	;; [unrolled: 1-line block ×3, first 2 shown]
	v_add_f64 v[0:1], v[0:1], v[36:37]
	v_add_f64 v[2:3], v[2:3], v[38:39]
	v_add_f64 v[68:69], v[38:39], -v[42:43]
	v_add_f64 v[6:7], v[38:39], v[42:43]
	v_add_f64 v[10:11], v[34:35], -v[38:39]
	v_add_f64 v[18:19], v[38:39], -v[34:35]
	;; [unrolled: 1-line block ×3, first 2 shown]
	v_add_f64 v[14:15], v[34:35], v[30:31]
	v_add_f64 v[0:1], v[0:1], v[40:41]
	;; [unrolled: 1-line block ×3, first 2 shown]
	v_add_f64 v[24:25], v[30:31], -v[42:43]
	v_add_f64 v[26:27], v[42:43], -v[30:31]
	v_add_f64 v[72:73], v[46:47], v[58:59]
	v_add_f64 v[4:5], v[36:37], v[40:41]
	;; [unrolled: 1-line block ×3, first 2 shown]
	v_add_f64 v[42:43], v[48:49], -v[44:45]
	v_add_f64 v[28:29], v[0:1], v[28:29]
	v_add_f64 v[0:1], v[64:65], v[48:49]
	;; [unrolled: 1-line block ×4, first 2 shown]
	v_add_f64 v[70:71], v[44:45], -v[48:49]
	v_add_f64 v[78:79], v[48:49], v[52:53]
	v_add_f64 v[48:49], v[48:49], -v[52:53]
	v_add_f64 v[80:81], v[52:53], -v[56:57]
	v_fma_f64 v[72:73], v[72:73], -0.5, v[66:67]
	v_add_f64 v[0:1], v[0:1], v[44:45]
	v_add_f64 v[44:45], v[44:45], -v[56:57]
	v_add_f64 v[2:3], v[2:3], v[46:47]
	v_add_f64 v[36:37], v[36:37], -v[40:41]
	v_add_f64 v[40:41], v[46:47], -v[58:59]
	;; [unrolled: 1-line block ×5, first 2 shown]
	v_add_f64 v[0:1], v[0:1], v[56:57]
	v_add_f64 v[56:57], v[56:57], -v[52:53]
	v_add_f64 v[2:3], v[2:3], v[58:59]
	v_add_f64 v[50:51], v[50:51], v[54:55]
	v_add_f64 v[82:83], v[54:55], -v[58:59]
	v_add_f64 v[58:59], v[58:59], -v[54:55]
	v_fma_f64 v[84:85], v[4:5], -0.5, v[60:61]
	v_fma_f64 v[34:35], v[34:35], -0.5, v[64:65]
	v_add_f64 v[52:53], v[0:1], v[52:53]
	v_fma_f64 v[86:87], v[6:7], -0.5, v[62:63]
	v_add_f64 v[54:55], v[2:3], v[54:55]
	;; [unrolled: 2-line block ×3, first 2 shown]
	v_add_f64 v[42:43], v[42:43], v[80:81]
	v_fma_f64 v[60:61], v[12:13], -0.5, v[60:61]
	v_fma_f64 v[62:63], v[14:15], -0.5, v[62:63]
	v_add_f64 v[0:1], v[28:29], v[52:53]
	v_add_f64 v[4:5], v[28:29], -v[52:53]
	v_add_f64 v[52:53], v[8:9], v[20:21]
	v_fma_f64 v[8:9], v[48:49], s[6:7], v[72:73]
	v_add_f64 v[2:3], v[30:31], v[54:55]
	v_add_f64 v[6:7], v[30:31], -v[54:55]
	v_add_f64 v[54:55], v[10:11], v[24:25]
	v_fma_f64 v[10:11], v[76:77], s[12:13], v[34:35]
	v_fma_f64 v[64:65], v[78:79], -0.5, v[64:65]
	v_add_f64 v[26:27], v[18:19], v[26:27]
	v_add_f64 v[30:31], v[46:47], v[58:59]
	v_fma_f64 v[8:9], v[44:45], s[8:9], v[8:9]
	v_add_f64 v[28:29], v[70:71], v[56:57]
	v_fma_f64 v[34:35], v[76:77], s[6:7], v[34:35]
	v_fma_f64 v[10:11], v[40:41], s[16:17], v[10:11]
	;; [unrolled: 1-line block ×7, first 2 shown]
	v_mul_f64 v[12:13], v[8:9], s[16:17]
	v_fma_f64 v[18:19], v[28:29], s[14:15], v[18:19]
	v_fma_f64 v[12:13], v[10:11], s[22:23], v[12:13]
	v_mul_f64 v[10:11], v[10:11], s[8:9]
	v_fma_f64 v[14:15], v[8:9], s[22:23], v[10:11]
	v_fma_f64 v[10:11], v[32:33], s[6:7], v[86:87]
	;; [unrolled: 1-line block ×7, first 2 shown]
	v_add_f64 v[10:11], v[24:25], v[14:15]
	v_add_f64 v[14:15], v[24:25], -v[14:15]
	v_add_f64 v[24:25], v[16:17], v[22:23]
	v_fma_f64 v[16:17], v[44:45], s[12:13], v[50:51]
	v_add_f64 v[8:9], v[20:21], v[12:13]
	v_add_f64 v[12:13], v[20:21], -v[12:13]
	v_fma_f64 v[16:17], v[48:49], s[8:9], v[16:17]
	v_fma_f64 v[16:17], v[30:31], s[14:15], v[16:17]
	v_mul_f64 v[20:21], v[16:17], s[12:13]
	v_mul_f64 v[16:17], v[16:17], s[14:15]
	v_fma_f64 v[20:21], v[18:19], s[14:15], v[20:21]
	v_fma_f64 v[22:23], v[18:19], s[6:7], v[16:17]
	;; [unrolled: 1-line block ×8, first 2 shown]
	v_add_f64 v[16:17], v[46:47], v[20:21]
	v_add_f64 v[20:21], v[46:47], -v[20:21]
	v_fma_f64 v[46:47], v[68:69], s[12:13], v[60:61]
	v_add_f64 v[18:19], v[56:57], v[22:23]
	v_add_f64 v[22:23], v[56:57], -v[22:23]
	v_fma_f64 v[46:47], v[38:39], s[8:9], v[46:47]
	v_fma_f64 v[38:39], v[38:39], s[6:7], v[84:85]
	;; [unrolled: 1-line block ×18, first 2 shown]
	v_mul_f64 v[28:29], v[24:25], s[12:13]
	v_mul_f64 v[24:25], v[24:25], s[20:21]
	v_fma_f64 v[28:29], v[26:27], s[20:21], v[28:29]
	v_fma_f64 v[30:31], v[26:27], s[6:7], v[24:25]
	v_add_f64 v[24:25], v[46:47], v[28:29]
	v_add_f64 v[28:29], v[46:47], -v[28:29]
	v_fma_f64 v[46:47], v[48:49], s[12:13], v[72:73]
	v_add_f64 v[26:27], v[56:57], v[30:31]
	v_add_f64 v[30:31], v[56:57], -v[30:31]
	v_fma_f64 v[44:45], v[44:45], s[16:17], v[46:47]
	v_fma_f64 v[36:37], v[66:67], s[14:15], v[44:45]
	v_mul_f64 v[34:35], v[36:37], s[16:17]
	v_mul_f64 v[36:37], v[36:37], s[18:19]
	v_fma_f64 v[42:43], v[32:33], s[18:19], v[34:35]
	v_fma_f64 v[44:45], v[32:33], s[8:9], v[36:37]
	v_add_f64 v[32:33], v[38:39], v[42:43]
	v_add_f64 v[34:35], v[40:41], v[44:45]
	v_add_f64 v[36:37], v[38:39], -v[42:43]
	v_add_f64 v[38:39], v[40:41], -v[44:45]
	ds_write_b128 v166, v[0:3]
	ds_write_b128 v166, v[8:11] offset:16
	ds_write_b128 v166, v[16:19] offset:32
	;; [unrolled: 1-line block ×9, first 2 shown]
	s_waitcnt lgkmcnt(0)
	s_barrier
	ds_read_b128 v[0:3], v164 offset:5760
	buffer_load_dword v6, off, s[44:47], 0 offset:608 ; 4-byte Folded Reload
	buffer_load_dword v7, off, s[44:47], 0 offset:612 ; 4-byte Folded Reload
	buffer_load_dword v8, off, s[44:47], 0 offset:616 ; 4-byte Folded Reload
	buffer_load_dword v9, off, s[44:47], 0 offset:620 ; 4-byte Folded Reload
	s_waitcnt vmcnt(0) lgkmcnt(0)
	v_mul_f64 v[4:5], v[8:9], v[2:3]
	v_fma_f64 v[62:63], v[6:7], v[0:1], v[4:5]
	v_mul_f64 v[0:1], v[8:9], v[0:1]
	v_fma_f64 v[60:61], v[6:7], v[2:3], -v[0:1]
	ds_read_b128 v[6:9], v164 offset:11520
	buffer_load_dword v2, off, s[44:47], 0 offset:592 ; 4-byte Folded Reload
	buffer_load_dword v3, off, s[44:47], 0 offset:596 ; 4-byte Folded Reload
	buffer_load_dword v4, off, s[44:47], 0 offset:600 ; 4-byte Folded Reload
	buffer_load_dword v5, off, s[44:47], 0 offset:604 ; 4-byte Folded Reload
	s_waitcnt vmcnt(0) lgkmcnt(0)
	v_mul_f64 v[0:1], v[4:5], v[8:9]
	v_fma_f64 v[52:53], v[2:3], v[6:7], v[0:1]
	v_mul_f64 v[0:1], v[4:5], v[6:7]
	v_fma_f64 v[58:59], v[2:3], v[8:9], -v[0:1]
	;; [unrolled: 10-line block ×3, first 2 shown]
	ds_read_b128 v[6:9], v164 offset:23040
	buffer_load_dword v2, off, s[44:47], 0 offset:560 ; 4-byte Folded Reload
	buffer_load_dword v3, off, s[44:47], 0 offset:564 ; 4-byte Folded Reload
	;; [unrolled: 1-line block ×4, first 2 shown]
	v_add_f64 v[14:15], v[60:61], v[50:51]
	s_waitcnt vmcnt(0) lgkmcnt(0)
	v_mul_f64 v[0:1], v[4:5], v[8:9]
	v_fma_f64 v[28:29], v[2:3], v[6:7], v[0:1]
	v_mul_f64 v[0:1], v[4:5], v[6:7]
	v_fma_f64 v[30:31], v[2:3], v[8:9], -v[0:1]
	ds_read_b128 v[6:9], v164 offset:28800
	buffer_load_dword v2, off, s[44:47], 0 offset:544 ; 4-byte Folded Reload
	buffer_load_dword v3, off, s[44:47], 0 offset:548 ; 4-byte Folded Reload
	;; [unrolled: 1-line block ×4, first 2 shown]
	s_waitcnt vmcnt(0) lgkmcnt(0)
	v_mul_f64 v[0:1], v[4:5], v[8:9]
	v_fma_f64 v[34:35], v[2:3], v[6:7], v[0:1]
	v_mul_f64 v[0:1], v[4:5], v[6:7]
	v_fma_f64 v[32:33], v[2:3], v[8:9], -v[0:1]
	ds_read_b128 v[6:9], v164 offset:34560
	buffer_load_dword v2, off, s[44:47], 0 offset:528 ; 4-byte Folded Reload
	buffer_load_dword v3, off, s[44:47], 0 offset:532 ; 4-byte Folded Reload
	;; [unrolled: 1-line block ×4, first 2 shown]
	v_add_f64 v[14:15], v[14:15], v[32:33]
	s_waitcnt vmcnt(0) lgkmcnt(0)
	v_mul_f64 v[0:1], v[4:5], v[8:9]
	v_fma_f64 v[36:37], v[2:3], v[6:7], v[0:1]
	v_mul_f64 v[0:1], v[4:5], v[6:7]
	v_add_f64 v[154:155], v[28:29], -v[36:37]
	v_fma_f64 v[38:39], v[2:3], v[8:9], -v[0:1]
	ds_read_b128 v[6:9], v164 offset:40320
	buffer_load_dword v2, off, s[44:47], 0 offset:512 ; 4-byte Folded Reload
	buffer_load_dword v3, off, s[44:47], 0 offset:516 ; 4-byte Folded Reload
	;; [unrolled: 1-line block ×4, first 2 shown]
	v_add_f64 v[157:158], v[30:31], -v[38:39]
	s_waitcnt vmcnt(0) lgkmcnt(0)
	v_mul_f64 v[0:1], v[4:5], v[8:9]
	v_fma_f64 v[42:43], v[2:3], v[6:7], v[0:1]
	v_mul_f64 v[0:1], v[4:5], v[6:7]
	v_add_f64 v[148:149], v[34:35], -v[42:43]
	v_fma_f64 v[40:41], v[2:3], v[8:9], -v[0:1]
	ds_read_b128 v[6:9], v164 offset:46080
	buffer_load_dword v2, off, s[44:47], 0 offset:496 ; 4-byte Folded Reload
	buffer_load_dword v3, off, s[44:47], 0 offset:500 ; 4-byte Folded Reload
	;; [unrolled: 1-line block ×4, first 2 shown]
	v_add_f64 v[14:15], v[14:15], v[40:41]
	v_add_f64 v[16:17], v[32:33], -v[40:41]
	s_waitcnt vmcnt(0) lgkmcnt(0)
	v_mul_f64 v[0:1], v[4:5], v[8:9]
	v_fma_f64 v[44:45], v[2:3], v[6:7], v[0:1]
	v_mul_f64 v[0:1], v[4:5], v[6:7]
	v_add_f64 v[12:13], v[52:53], v[44:45]
	v_fma_f64 v[46:47], v[2:3], v[8:9], -v[0:1]
	ds_read_b128 v[6:9], v164 offset:51840
	buffer_load_dword v2, off, s[44:47], 0 offset:688 ; 4-byte Folded Reload
	buffer_load_dword v3, off, s[44:47], 0 offset:692 ; 4-byte Folded Reload
	;; [unrolled: 1-line block ×4, first 2 shown]
	s_waitcnt vmcnt(0) lgkmcnt(0)
	v_mul_f64 v[0:1], v[4:5], v[8:9]
	v_fma_f64 v[166:167], v[2:3], v[6:7], v[0:1]
	v_mul_f64 v[0:1], v[4:5], v[6:7]
	v_add_f64 v[4:5], v[52:53], -v[44:45]
	v_fma_f64 v[26:27], v[2:3], v[8:9], -v[0:1]
	ds_read_b128 v[6:9], v164 offset:7680
	buffer_load_dword v0, off, s[44:47], 0 offset:672 ; 4-byte Folded Reload
	buffer_load_dword v1, off, s[44:47], 0 offset:676 ; 4-byte Folded Reload
	;; [unrolled: 1-line block ×4, first 2 shown]
	v_add_f64 v[14:15], v[14:15], v[26:27]
	s_waitcnt vmcnt(0) lgkmcnt(0)
	v_mul_f64 v[10:11], v[2:3], v[8:9]
	v_fma_f64 v[152:153], v[0:1], v[6:7], v[10:11]
	v_mul_f64 v[6:7], v[2:3], v[6:7]
	v_fma_f64 v[150:151], v[0:1], v[8:9], -v[6:7]
	ds_read_b128 v[6:9], v164 offset:13440
	buffer_load_dword v0, off, s[44:47], 0 offset:624 ; 4-byte Folded Reload
	buffer_load_dword v1, off, s[44:47], 0 offset:628 ; 4-byte Folded Reload
	buffer_load_dword v2, off, s[44:47], 0 offset:632 ; 4-byte Folded Reload
	buffer_load_dword v3, off, s[44:47], 0 offset:636 ; 4-byte Folded Reload
	s_waitcnt vmcnt(0) lgkmcnt(0)
	v_mul_f64 v[10:11], v[2:3], v[8:9]
	v_fma_f64 v[88:89], v[0:1], v[6:7], v[10:11]
	v_mul_f64 v[6:7], v[2:3], v[6:7]
	v_fma_f64 v[90:91], v[0:1], v[8:9], -v[6:7]
	ds_read_b128 v[6:9], v164 offset:19200
	buffer_load_dword v0, off, s[44:47], 0 offset:656 ; 4-byte Folded Reload
	buffer_load_dword v1, off, s[44:47], 0 offset:660 ; 4-byte Folded Reload
	buffer_load_dword v2, off, s[44:47], 0 offset:664 ; 4-byte Folded Reload
	buffer_load_dword v3, off, s[44:47], 0 offset:668 ; 4-byte Folded Reload
	s_waitcnt vmcnt(0) lgkmcnt(0)
	v_mul_f64 v[10:11], v[2:3], v[8:9]
	v_fma_f64 v[94:95], v[0:1], v[6:7], v[10:11]
	v_mul_f64 v[6:7], v[2:3], v[6:7]
	v_fma_f64 v[92:93], v[0:1], v[8:9], -v[6:7]
	ds_read_b128 v[6:9], v164 offset:24960
	buffer_load_dword v0, off, s[44:47], 0 offset:640 ; 4-byte Folded Reload
	buffer_load_dword v1, off, s[44:47], 0 offset:644 ; 4-byte Folded Reload
	buffer_load_dword v2, off, s[44:47], 0 offset:648 ; 4-byte Folded Reload
	buffer_load_dword v3, off, s[44:47], 0 offset:652 ; 4-byte Folded Reload
	s_waitcnt vmcnt(0) lgkmcnt(0)
	v_mul_f64 v[10:11], v[2:3], v[8:9]
	v_fma_f64 v[96:97], v[0:1], v[6:7], v[10:11]
	v_mul_f64 v[6:7], v[2:3], v[6:7]
	v_fma_f64 v[98:99], v[0:1], v[8:9], -v[6:7]
	ds_read_b128 v[6:9], v164 offset:30720
	buffer_load_dword v0, off, s[44:47], 0 offset:704 ; 4-byte Folded Reload
	buffer_load_dword v1, off, s[44:47], 0 offset:708 ; 4-byte Folded Reload
	buffer_load_dword v2, off, s[44:47], 0 offset:712 ; 4-byte Folded Reload
	buffer_load_dword v3, off, s[44:47], 0 offset:716 ; 4-byte Folded Reload
	s_waitcnt vmcnt(0) lgkmcnt(0)
	v_mul_f64 v[10:11], v[2:3], v[8:9]
	v_fma_f64 v[102:103], v[0:1], v[6:7], v[10:11]
	v_mul_f64 v[6:7], v[2:3], v[6:7]
	v_fma_f64 v[100:101], v[0:1], v[8:9], -v[6:7]
	ds_read_b128 v[6:9], v164 offset:36480
	buffer_load_dword v0, off, s[44:47], 0 offset:720 ; 4-byte Folded Reload
	buffer_load_dword v1, off, s[44:47], 0 offset:724 ; 4-byte Folded Reload
	buffer_load_dword v2, off, s[44:47], 0 offset:728 ; 4-byte Folded Reload
	buffer_load_dword v3, off, s[44:47], 0 offset:732 ; 4-byte Folded Reload
	s_waitcnt vmcnt(0) lgkmcnt(0)
	v_mul_f64 v[10:11], v[2:3], v[8:9]
	v_fma_f64 v[104:105], v[0:1], v[6:7], v[10:11]
	v_mul_f64 v[6:7], v[2:3], v[6:7]
	v_fma_f64 v[106:107], v[0:1], v[8:9], -v[6:7]
	ds_read_b128 v[6:9], v164 offset:42240
	buffer_load_dword v0, off, s[44:47], 0 offset:736 ; 4-byte Folded Reload
	buffer_load_dword v1, off, s[44:47], 0 offset:740 ; 4-byte Folded Reload
	buffer_load_dword v2, off, s[44:47], 0 offset:744 ; 4-byte Folded Reload
	buffer_load_dword v3, off, s[44:47], 0 offset:748 ; 4-byte Folded Reload
	s_waitcnt vmcnt(0) lgkmcnt(0)
	v_mul_f64 v[10:11], v[2:3], v[8:9]
	v_fma_f64 v[110:111], v[0:1], v[6:7], v[10:11]
	v_mul_f64 v[6:7], v[2:3], v[6:7]
	v_fma_f64 v[108:109], v[0:1], v[8:9], -v[6:7]
	ds_read_b128 v[6:9], v164 offset:48000
	buffer_load_dword v0, off, s[44:47], 0 offset:752 ; 4-byte Folded Reload
	buffer_load_dword v1, off, s[44:47], 0 offset:756 ; 4-byte Folded Reload
	buffer_load_dword v2, off, s[44:47], 0 offset:760 ; 4-byte Folded Reload
	buffer_load_dword v3, off, s[44:47], 0 offset:764 ; 4-byte Folded Reload
	s_waitcnt vmcnt(0) lgkmcnt(0)
	v_mul_f64 v[10:11], v[2:3], v[8:9]
	v_fma_f64 v[112:113], v[0:1], v[6:7], v[10:11]
	v_mul_f64 v[6:7], v[2:3], v[6:7]
	v_fma_f64 v[114:115], v[0:1], v[8:9], -v[6:7]
	ds_read_b128 v[6:9], v164 offset:53760
	buffer_load_dword v0, off, s[44:47], 0 offset:768 ; 4-byte Folded Reload
	buffer_load_dword v1, off, s[44:47], 0 offset:772 ; 4-byte Folded Reload
	buffer_load_dword v2, off, s[44:47], 0 offset:776 ; 4-byte Folded Reload
	buffer_load_dword v3, off, s[44:47], 0 offset:780 ; 4-byte Folded Reload
	s_waitcnt vmcnt(0) lgkmcnt(0)
	v_mul_f64 v[10:11], v[2:3], v[8:9]
	v_fma_f64 v[118:119], v[0:1], v[6:7], v[10:11]
	v_mul_f64 v[6:7], v[2:3], v[6:7]
	v_fma_f64 v[116:117], v[0:1], v[8:9], -v[6:7]
	ds_read_b128 v[6:9], v164 offset:9600
	buffer_load_dword v0, off, s[44:47], 0 offset:784 ; 4-byte Folded Reload
	buffer_load_dword v1, off, s[44:47], 0 offset:788 ; 4-byte Folded Reload
	buffer_load_dword v2, off, s[44:47], 0 offset:792 ; 4-byte Folded Reload
	buffer_load_dword v3, off, s[44:47], 0 offset:796 ; 4-byte Folded Reload
	s_waitcnt vmcnt(0) lgkmcnt(0)
	v_mul_f64 v[10:11], v[2:3], v[8:9]
	v_fma_f64 v[161:162], v[0:1], v[6:7], v[10:11]
	v_mul_f64 v[6:7], v[2:3], v[6:7]
	v_fma_f64 v[159:160], v[0:1], v[8:9], -v[6:7]
	ds_read_b128 v[6:9], v164 offset:15360
	buffer_load_dword v0, off, s[44:47], 0 offset:800 ; 4-byte Folded Reload
	buffer_load_dword v1, off, s[44:47], 0 offset:804 ; 4-byte Folded Reload
	buffer_load_dword v2, off, s[44:47], 0 offset:808 ; 4-byte Folded Reload
	buffer_load_dword v3, off, s[44:47], 0 offset:812 ; 4-byte Folded Reload
	s_waitcnt vmcnt(0) lgkmcnt(0)
	v_mul_f64 v[10:11], v[2:3], v[8:9]
	v_fma_f64 v[140:141], v[0:1], v[6:7], v[10:11]
	v_mul_f64 v[6:7], v[2:3], v[6:7]
	v_fma_f64 v[146:147], v[0:1], v[8:9], -v[6:7]
	ds_read_b128 v[6:9], v164 offset:21120
	buffer_load_dword v0, off, s[44:47], 0 offset:816 ; 4-byte Folded Reload
	buffer_load_dword v1, off, s[44:47], 0 offset:820 ; 4-byte Folded Reload
	buffer_load_dword v2, off, s[44:47], 0 offset:824 ; 4-byte Folded Reload
	buffer_load_dword v3, off, s[44:47], 0 offset:828 ; 4-byte Folded Reload
	s_waitcnt vmcnt(0) lgkmcnt(0)
	v_mul_f64 v[10:11], v[2:3], v[8:9]
	v_fma_f64 v[142:143], v[0:1], v[6:7], v[10:11]
	v_mul_f64 v[6:7], v[2:3], v[6:7]
	v_fma_f64 v[144:145], v[0:1], v[8:9], -v[6:7]
	ds_read_b128 v[6:9], v164 offset:26880
	buffer_load_dword v0, off, s[44:47], 0 offset:848 ; 4-byte Folded Reload
	buffer_load_dword v1, off, s[44:47], 0 offset:852 ; 4-byte Folded Reload
	buffer_load_dword v2, off, s[44:47], 0 offset:856 ; 4-byte Folded Reload
	buffer_load_dword v3, off, s[44:47], 0 offset:860 ; 4-byte Folded Reload
	s_waitcnt vmcnt(0) lgkmcnt(0)
	v_mul_f64 v[10:11], v[2:3], v[8:9]
	v_fma_f64 v[84:85], v[0:1], v[6:7], v[10:11]
	v_mul_f64 v[6:7], v[2:3], v[6:7]
	v_fma_f64 v[86:87], v[0:1], v[8:9], -v[6:7]
	ds_read_b128 v[6:9], v164 offset:32640
	buffer_load_dword v0, off, s[44:47], 0 offset:928 ; 4-byte Folded Reload
	buffer_load_dword v1, off, s[44:47], 0 offset:932 ; 4-byte Folded Reload
	buffer_load_dword v2, off, s[44:47], 0 offset:936 ; 4-byte Folded Reload
	buffer_load_dword v3, off, s[44:47], 0 offset:940 ; 4-byte Folded Reload
	s_waitcnt vmcnt(0) lgkmcnt(0)
	v_mul_f64 v[10:11], v[2:3], v[8:9]
	v_fma_f64 v[66:67], v[0:1], v[6:7], v[10:11]
	v_mul_f64 v[6:7], v[2:3], v[6:7]
	v_fma_f64 v[138:139], v[0:1], v[8:9], -v[6:7]
	ds_read_b128 v[6:9], v164 offset:38400
	buffer_load_dword v0, off, s[44:47], 0 offset:944 ; 4-byte Folded Reload
	buffer_load_dword v1, off, s[44:47], 0 offset:948 ; 4-byte Folded Reload
	buffer_load_dword v2, off, s[44:47], 0 offset:952 ; 4-byte Folded Reload
	buffer_load_dword v3, off, s[44:47], 0 offset:956 ; 4-byte Folded Reload
	s_waitcnt vmcnt(0) lgkmcnt(0)
	v_mul_f64 v[10:11], v[2:3], v[8:9]
	v_fma_f64 v[70:71], v[0:1], v[6:7], v[10:11]
	v_mul_f64 v[6:7], v[2:3], v[6:7]
	v_fma_f64 v[72:73], v[0:1], v[8:9], -v[6:7]
	ds_read_b128 v[6:9], v164 offset:44160
	buffer_load_dword v0, off, s[44:47], 0 offset:960 ; 4-byte Folded Reload
	buffer_load_dword v1, off, s[44:47], 0 offset:964 ; 4-byte Folded Reload
	buffer_load_dword v2, off, s[44:47], 0 offset:968 ; 4-byte Folded Reload
	buffer_load_dword v3, off, s[44:47], 0 offset:972 ; 4-byte Folded Reload
	s_waitcnt vmcnt(0) lgkmcnt(0)
	v_mul_f64 v[10:11], v[2:3], v[8:9]
	v_fma_f64 v[74:75], v[0:1], v[6:7], v[10:11]
	v_mul_f64 v[6:7], v[2:3], v[6:7]
	v_fma_f64 v[68:69], v[0:1], v[8:9], -v[6:7]
	ds_read_b128 v[6:9], v164 offset:49920
	buffer_load_dword v0, off, s[44:47], 0 offset:976 ; 4-byte Folded Reload
	buffer_load_dword v1, off, s[44:47], 0 offset:980 ; 4-byte Folded Reload
	buffer_load_dword v2, off, s[44:47], 0 offset:984 ; 4-byte Folded Reload
	buffer_load_dword v3, off, s[44:47], 0 offset:988 ; 4-byte Folded Reload
	s_waitcnt vmcnt(0) lgkmcnt(0)
	v_mul_f64 v[10:11], v[2:3], v[8:9]
	v_fma_f64 v[78:79], v[0:1], v[6:7], v[10:11]
	v_mul_f64 v[6:7], v[2:3], v[6:7]
	v_fma_f64 v[80:81], v[0:1], v[8:9], -v[6:7]
	ds_read_b128 v[6:9], v164 offset:55680
	buffer_load_dword v0, off, s[44:47], 0 offset:992 ; 4-byte Folded Reload
	buffer_load_dword v1, off, s[44:47], 0 offset:996 ; 4-byte Folded Reload
	buffer_load_dword v2, off, s[44:47], 0 offset:1000 ; 4-byte Folded Reload
	buffer_load_dword v3, off, s[44:47], 0 offset:1004 ; 4-byte Folded Reload
	s_waitcnt vmcnt(0) lgkmcnt(0)
	v_mul_f64 v[10:11], v[2:3], v[8:9]
	v_fma_f64 v[82:83], v[0:1], v[6:7], v[10:11]
	v_mul_f64 v[6:7], v[2:3], v[6:7]
	v_fma_f64 v[76:77], v[0:1], v[8:9], -v[6:7]
	ds_read_b128 v[8:11], v164
	v_add_f64 v[6:7], v[28:29], v[36:37]
	s_waitcnt lgkmcnt(0)
	v_fma_f64 v[124:125], v[12:13], -0.5, v[8:9]
	v_add_f64 v[12:13], v[30:31], v[38:39]
	v_fma_f64 v[64:65], v[6:7], -0.5, v[8:9]
	v_add_f64 v[8:9], v[8:9], v[52:53]
	v_add_f64 v[6:7], v[58:59], -v[46:47]
	v_fma_f64 v[126:127], v[12:13], -0.5, v[10:11]
	v_add_f64 v[12:13], v[58:59], v[46:47]
	v_add_f64 v[8:9], v[8:9], v[28:29]
	v_fma_f64 v[128:129], v[12:13], -0.5, v[10:11]
	v_add_f64 v[10:11], v[10:11], v[58:59]
	v_add_f64 v[12:13], v[62:63], v[48:49]
	;; [unrolled: 1-line block ×12, first 2 shown]
	v_add_f64 v[120:121], v[8:9], -v[12:13]
	v_add_f64 v[122:123], v[10:11], -v[14:15]
	;; [unrolled: 1-line block ×6, first 2 shown]
	v_add_f64 v[22:23], v[8:9], v[10:11]
	v_add_f64 v[8:9], v[50:51], -v[32:33]
	v_add_f64 v[10:11], v[26:27], -v[40:41]
	v_add_f64 v[130:131], v[12:13], v[14:15]
	v_add_f64 v[12:13], v[58:59], -v[30:31]
	v_add_f64 v[14:15], v[46:47], -v[38:39]
	v_add_f64 v[20:21], v[8:9], v[10:11]
	v_add_f64 v[8:9], v[34:35], v[42:43]
	v_add_f64 v[34:35], v[34:35], -v[48:49]
	v_add_f64 v[24:25], v[12:13], v[14:15]
	v_add_f64 v[14:15], v[48:49], -v[166:167]
	v_add_f64 v[12:13], v[50:51], -v[26:27]
	v_fma_f64 v[136:137], v[8:9], -0.5, v[62:63]
	v_add_f64 v[8:9], v[32:33], v[40:41]
	v_add_f64 v[32:33], v[32:33], -v[50:51]
	v_fma_f64 v[10:11], v[12:13], s[12:13], v[136:137]
	v_fma_f64 v[18:19], v[8:9], -0.5, v[60:61]
	v_fma_f64 v[10:11], v[16:17], s[16:17], v[10:11]
	v_fma_f64 v[8:9], v[14:15], s[6:7], v[18:19]
	;; [unrolled: 1-line block ×5, first 2 shown]
	v_mul_f64 v[54:55], v[8:9], s[16:17]
	v_mul_f64 v[8:9], v[8:9], s[22:23]
	v_fma_f64 v[54:55], v[10:11], s[22:23], v[54:55]
	v_fma_f64 v[56:57], v[10:11], s[8:9], v[8:9]
	;; [unrolled: 1-line block ×8, first 2 shown]
	v_add_f64 v[8:9], v[0:1], v[54:55]
	v_add_f64 v[54:55], v[0:1], -v[54:55]
	v_add_f64 v[0:1], v[28:29], -v[52:53]
	;; [unrolled: 1-line block ×5, first 2 shown]
	v_add_f64 v[42:43], v[50:51], v[26:27]
	v_add_f64 v[10:11], v[2:3], v[56:57]
	v_add_f64 v[56:57], v[2:3], -v[56:57]
	v_add_f64 v[2:3], v[36:37], -v[44:45]
	v_add_f64 v[36:37], v[48:49], v[166:167]
	v_add_f64 v[26:27], v[40:41], -v[26:27]
	v_add_f64 v[52:53], v[94:95], -v[118:119]
	v_fma_f64 v[40:41], v[42:43], -0.5, v[60:61]
	v_add_f64 v[0:1], v[0:1], v[2:3]
	v_add_f64 v[2:3], v[28:29], v[30:31]
	v_fma_f64 v[28:29], v[36:37], -0.5, v[62:63]
	v_add_f64 v[26:27], v[32:33], v[26:27]
	v_add_f64 v[30:31], v[34:35], v[38:39]
	v_fma_f64 v[32:33], v[148:149], s[12:13], v[40:41]
	v_fma_f64 v[38:39], v[154:155], s[12:13], v[128:129]
	v_add_f64 v[62:63], v[98:99], -v[106:107]
	v_fma_f64 v[34:35], v[16:17], s[6:7], v[28:29]
	v_fma_f64 v[28:29], v[16:17], s[12:13], v[28:29]
	v_fma_f64 v[32:33], v[14:15], s[8:9], v[32:33]
	v_fma_f64 v[38:39], v[4:5], s[8:9], v[38:39]
	v_fma_f64 v[34:35], v[12:13], s[16:17], v[34:35]
	v_fma_f64 v[28:29], v[12:13], s[8:9], v[28:29]
	v_fma_f64 v[32:33], v[26:27], s[14:15], v[32:33]
	v_fma_f64 v[38:39], v[2:3], s[14:15], v[38:39]
	v_fma_f64 v[34:35], v[30:31], s[14:15], v[34:35]
	v_fma_f64 v[28:29], v[30:31], s[14:15], v[28:29]
	v_mul_f64 v[36:37], v[32:33], s[12:13]
	v_mul_f64 v[32:33], v[32:33], s[14:15]
	v_fma_f64 v[36:37], v[34:35], s[14:15], v[36:37]
	v_fma_f64 v[32:33], v[34:35], s[6:7], v[32:33]
	;; [unrolled: 1-line block ×3, first 2 shown]
	v_add_f64 v[60:61], v[38:39], v[32:33]
	v_add_f64 v[50:51], v[38:39], -v[32:33]
	v_fma_f64 v[32:33], v[157:158], s[12:13], v[124:125]
	v_fma_f64 v[34:35], v[6:7], s[16:17], v[34:35]
	;; [unrolled: 1-line block ×6, first 2 shown]
	v_add_f64 v[58:59], v[34:35], v[36:37]
	v_add_f64 v[48:49], v[34:35], -v[36:37]
	v_fma_f64 v[32:33], v[4:5], s[16:17], v[32:33]
	v_fma_f64 v[4:5], v[4:5], s[12:13], v[126:127]
	;; [unrolled: 1-line block ×7, first 2 shown]
	v_add_f64 v[24:25], v[98:99], -v[90:91]
	v_fma_f64 v[26:27], v[26:27], s[14:15], v[32:33]
	v_mul_f64 v[30:31], v[26:27], s[12:13]
	v_mul_f64 v[26:27], v[26:27], s[20:21]
	v_fma_f64 v[30:31], v[28:29], s[20:21], v[30:31]
	v_fma_f64 v[26:27], v[28:29], s[6:7], v[26:27]
	v_add_f64 v[32:33], v[0:1], v[30:31]
	v_add_f64 v[28:29], v[0:1], -v[30:31]
	v_fma_f64 v[0:1], v[14:15], s[12:13], v[18:19]
	v_add_f64 v[34:35], v[2:3], v[26:27]
	v_add_f64 v[30:31], v[2:3], -v[26:27]
	v_fma_f64 v[2:3], v[6:7], s[6:7], v[64:65]
	v_fma_f64 v[6:7], v[12:13], s[6:7], v[136:137]
	v_add_f64 v[64:65], v[88:89], -v[112:113]
	v_add_f64 v[26:27], v[106:107], -v[114:115]
	v_fma_f64 v[0:1], v[148:149], s[16:17], v[0:1]
	v_fma_f64 v[2:3], v[157:158], s[8:9], v[2:3]
	;; [unrolled: 1-line block ×6, first 2 shown]
	v_mul_f64 v[12:13], v[0:1], s[16:17]
	v_mul_f64 v[0:1], v[0:1], s[18:19]
	v_fma_f64 v[12:13], v[6:7], s[18:19], v[12:13]
	v_fma_f64 v[0:1], v[6:7], s[8:9], v[0:1]
	v_add_f64 v[44:45], v[2:3], v[12:13]
	v_add_f64 v[46:47], v[4:5], v[0:1]
	v_add_f64 v[38:39], v[4:5], -v[0:1]
	v_add_f64 v[4:5], v[96:97], v[104:105]
	v_add_f64 v[36:37], v[2:3], -v[12:13]
	ds_read_b128 v[40:43], v164 offset:1920
	ds_read_b128 v[0:3], v164 offset:3840
	s_waitcnt lgkmcnt(0)
	s_barrier
	ds_write_b128 v156, v[132:135]
	ds_write_b128 v156, v[8:11] offset:160
	ds_write_b128 v156, v[58:61] offset:320
	;; [unrolled: 1-line block ×9, first 2 shown]
	v_add_f64 v[6:7], v[42:43], v[90:91]
	v_fma_f64 v[36:37], v[4:5], -0.5, v[40:41]
	v_add_f64 v[4:5], v[88:89], v[112:113]
	v_add_f64 v[8:9], v[152:153], v[94:95]
	v_add_f64 v[10:11], v[150:151], v[92:93]
	v_add_f64 v[54:55], v[102:103], -v[110:111]
	v_add_f64 v[56:57], v[92:93], -v[116:117]
	;; [unrolled: 1-line block ×3, first 2 shown]
	v_add_f64 v[6:7], v[6:7], v[98:99]
	v_add_f64 v[60:61], v[90:91], -v[114:115]
	v_fma_f64 v[28:29], v[4:5], -0.5, v[40:41]
	v_add_f64 v[4:5], v[98:99], v[106:107]
	v_add_f64 v[8:9], v[8:9], v[102:103]
	;; [unrolled: 1-line block ×3, first 2 shown]
	v_add_f64 v[120:121], v[96:97], -v[104:105]
	v_add_f64 v[34:35], v[94:95], v[118:119]
	v_add_f64 v[6:7], v[6:7], v[106:107]
	v_add_f64 v[32:33], v[102:103], -v[94:95]
	v_fma_f64 v[38:39], v[4:5], -0.5, v[42:43]
	v_add_f64 v[4:5], v[90:91], v[114:115]
	v_add_f64 v[8:9], v[8:9], v[110:111]
	v_add_f64 v[10:11], v[10:11], v[108:109]
	v_fma_f64 v[34:35], v[34:35], -0.5, v[152:153]
	v_add_f64 v[14:15], v[6:7], v[114:115]
	v_fma_f64 v[30:31], v[4:5], -0.5, v[42:43]
	v_add_f64 v[4:5], v[40:41], v[88:89]
	v_add_f64 v[8:9], v[8:9], v[118:119]
	;; [unrolled: 1-line block ×5, first 2 shown]
	v_add_f64 v[10:11], v[14:15], -v[10:11]
	v_add_f64 v[14:15], v[112:113], -v[104:105]
	v_add_f64 v[4:5], v[4:5], v[104:105]
	v_add_f64 v[12:13], v[4:5], v[112:113]
	;; [unrolled: 1-line block ×3, first 2 shown]
	v_add_f64 v[8:9], v[12:13], -v[8:9]
	v_add_f64 v[12:13], v[88:89], -v[96:97]
	v_add_f64 v[40:41], v[12:13], v[14:15]
	v_add_f64 v[12:13], v[90:91], -v[98:99]
	v_add_f64 v[14:15], v[114:115], -v[106:107]
	;; [unrolled: 1-line block ×3, first 2 shown]
	v_add_f64 v[98:99], v[24:25], v[26:27]
	v_add_f64 v[42:43], v[12:13], v[14:15]
	v_add_f64 v[12:13], v[94:95], -v[102:103]
	v_add_f64 v[14:15], v[118:119], -v[110:111]
	;; [unrolled: 1-line block ×3, first 2 shown]
	v_add_f64 v[44:45], v[12:13], v[14:15]
	v_add_f64 v[12:13], v[92:93], -v[100:101]
	v_add_f64 v[14:15], v[116:117], -v[108:109]
	v_add_f64 v[92:93], v[92:93], v[116:117]
	v_add_f64 v[46:47], v[12:13], v[14:15]
	;; [unrolled: 1-line block ×3, first 2 shown]
	v_fma_f64 v[92:93], v[92:93], -0.5, v[150:151]
	v_fma_f64 v[48:49], v[12:13], -0.5, v[152:153]
	v_add_f64 v[12:13], v[100:101], v[108:109]
	v_fma_f64 v[14:15], v[56:57], s[12:13], v[48:49]
	v_fma_f64 v[50:51], v[12:13], -0.5, v[150:151]
	v_fma_f64 v[48:49], v[56:57], s[6:7], v[48:49]
	v_fma_f64 v[14:15], v[58:59], s[16:17], v[14:15]
	;; [unrolled: 1-line block ×10, first 2 shown]
	v_add_f64 v[50:51], v[66:67], -v[74:75]
	v_mul_f64 v[16:17], v[12:13], s[16:17]
	v_mul_f64 v[12:13], v[12:13], s[22:23]
	v_fma_f64 v[16:17], v[14:15], s[22:23], v[16:17]
	v_fma_f64 v[18:19], v[14:15], s[8:9], v[12:13]
	;; [unrolled: 1-line block ×15, first 2 shown]
	v_mul_f64 v[38:39], v[46:47], s[16:17]
	v_mul_f64 v[44:45], v[46:47], s[18:19]
	v_add_f64 v[48:49], v[142:143], -v[82:83]
	v_add_f64 v[12:13], v[20:21], v[16:17]
	v_add_f64 v[14:15], v[22:23], v[18:19]
	v_add_f64 v[16:17], v[20:21], -v[16:17]
	v_add_f64 v[18:19], v[22:23], -v[18:19]
	;; [unrolled: 1-line block ×5, first 2 shown]
	v_fma_f64 v[46:47], v[36:37], s[18:19], v[38:39]
	v_fma_f64 v[44:45], v[36:37], s[8:9], v[44:45]
	v_add_f64 v[96:97], v[20:21], v[22:23]
	v_fma_f64 v[20:21], v[54:55], s[12:13], v[92:93]
	v_add_f64 v[32:33], v[32:33], v[88:89]
	v_add_f64 v[88:89], v[90:91], v[94:95]
	v_fma_f64 v[22:23], v[58:59], s[6:7], v[34:35]
	v_add_f64 v[36:37], v[40:41], v[46:47]
	v_add_f64 v[38:39], v[42:43], v[44:45]
	v_add_f64 v[40:41], v[40:41], -v[46:47]
	v_add_f64 v[42:43], v[42:43], -v[44:45]
	v_fma_f64 v[20:21], v[52:53], s[8:9], v[20:21]
	v_fma_f64 v[22:23], v[56:57], s[16:17], v[22:23]
	;; [unrolled: 1-line block ×4, first 2 shown]
	v_mul_f64 v[24:25], v[20:21], s[12:13]
	v_mul_f64 v[20:21], v[20:21], s[14:15]
	v_fma_f64 v[24:25], v[22:23], s[14:15], v[24:25]
	v_fma_f64 v[26:27], v[22:23], s[6:7], v[20:21]
	v_fma_f64 v[20:21], v[62:63], s[6:7], v[28:29]
	v_fma_f64 v[28:29], v[62:63], s[12:13], v[28:29]
	v_fma_f64 v[22:23], v[120:121], s[12:13], v[30:31]
	v_add_f64 v[62:63], v[84:85], -v[70:71]
	v_fma_f64 v[20:21], v[60:61], s[16:17], v[20:21]
	v_fma_f64 v[28:29], v[60:61], s[8:9], v[28:29]
	v_fma_f64 v[22:23], v[64:65], s[8:9], v[22:23]
	v_add_f64 v[60:61], v[140:141], -v[78:79]
	v_fma_f64 v[90:91], v[96:97], s[14:15], v[20:21]
	v_fma_f64 v[94:95], v[98:99], s[14:15], v[22:23]
	v_add_f64 v[20:21], v[90:91], v[24:25]
	v_add_f64 v[24:25], v[90:91], -v[24:25]
	v_fma_f64 v[90:91], v[96:97], s[14:15], v[28:29]
	v_fma_f64 v[28:29], v[120:121], s[6:7], v[30:31]
	v_add_f64 v[22:23], v[94:95], v[26:27]
	v_add_f64 v[26:27], v[94:95], -v[26:27]
	v_fma_f64 v[30:31], v[58:59], s[12:13], v[34:35]
	v_add_f64 v[58:59], v[86:87], -v[72:73]
	v_fma_f64 v[28:29], v[64:65], s[16:17], v[28:29]
	;; [unrolled: 2-line block ×4, first 2 shown]
	v_fma_f64 v[28:29], v[54:55], s[6:7], v[92:93]
	v_add_f64 v[54:55], v[138:139], -v[68:69]
	v_fma_f64 v[30:31], v[32:33], s[14:15], v[30:31]
	v_fma_f64 v[28:29], v[52:53], s[16:17], v[28:29]
	v_add_f64 v[52:53], v[144:145], -v[76:77]
	v_fma_f64 v[28:29], v[88:89], s[14:15], v[28:29]
	v_mul_f64 v[32:33], v[28:29], s[12:13]
	v_mul_f64 v[28:29], v[28:29], s[20:21]
	v_fma_f64 v[32:33], v[30:31], s[20:21], v[32:33]
	v_fma_f64 v[34:35], v[30:31], s[6:7], v[28:29]
	v_add_f64 v[28:29], v[90:91], v[32:33]
	v_add_f64 v[30:31], v[94:95], v[34:35]
	v_add_f64 v[32:33], v[90:91], -v[32:33]
	v_add_f64 v[34:35], v[94:95], -v[34:35]
	ds_write_b128 v165, v[4:7]
	ds_write_b128 v165, v[12:15] offset:160
	ds_write_b128 v165, v[20:23] offset:320
	;; [unrolled: 1-line block ×9, first 2 shown]
	v_add_f64 v[4:5], v[84:85], v[70:71]
	v_add_f64 v[6:7], v[159:160], v[144:145]
	;; [unrolled: 1-line block ×3, first 2 shown]
	v_add_f64 v[22:23], v[72:73], -v[80:81]
	v_add_f64 v[28:29], v[66:67], -v[142:143]
	;; [unrolled: 1-line block ×3, first 2 shown]
	v_fma_f64 v[32:33], v[4:5], -0.5, v[0:1]
	v_add_f64 v[4:5], v[140:141], v[78:79]
	v_add_f64 v[6:7], v[6:7], v[138:139]
	v_fma_f64 v[30:31], v[30:31], -0.5, v[161:162]
	v_add_f64 v[28:29], v[28:29], v[64:65]
	v_fma_f64 v[24:25], v[4:5], -0.5, v[0:1]
	v_add_f64 v[4:5], v[86:87], v[72:73]
	v_add_f64 v[0:1], v[0:1], v[140:141]
	v_add_f64 v[6:7], v[6:7], v[68:69]
	v_fma_f64 v[34:35], v[4:5], -0.5, v[2:3]
	v_add_f64 v[4:5], v[146:147], v[80:81]
	v_add_f64 v[0:1], v[0:1], v[84:85]
	;; [unrolled: 4-line block ×3, first 2 shown]
	v_add_f64 v[0:1], v[0:1], v[70:71]
	v_add_f64 v[2:3], v[2:3], v[86:87]
	;; [unrolled: 1-line block ×10, first 2 shown]
	v_add_f64 v[4:5], v[8:9], -v[4:5]
	v_add_f64 v[6:7], v[10:11], -v[6:7]
	;; [unrolled: 1-line block ×4, first 2 shown]
	v_add_f64 v[36:37], v[8:9], v[10:11]
	v_add_f64 v[8:9], v[146:147], -v[86:87]
	v_add_f64 v[10:11], v[80:81], -v[72:73]
	v_add_f64 v[38:39], v[8:9], v[10:11]
	v_add_f64 v[8:9], v[142:143], -v[66:67]
	v_add_f64 v[10:11], v[82:83], -v[74:75]
	;; [unrolled: 3-line block ×3, first 2 shown]
	v_add_f64 v[42:43], v[8:9], v[10:11]
	v_add_f64 v[8:9], v[66:67], v[74:75]
	v_add_f64 v[66:67], v[138:139], -v[144:145]
	v_add_f64 v[74:75], v[20:21], v[22:23]
	v_fma_f64 v[44:45], v[8:9], -0.5, v[161:162]
	v_add_f64 v[8:9], v[138:139], v[68:69]
	v_add_f64 v[68:69], v[68:69], -v[76:77]
	v_fma_f64 v[10:11], v[52:53], s[12:13], v[44:45]
	v_fma_f64 v[46:47], v[8:9], -0.5, v[159:160]
	v_add_f64 v[64:65], v[66:67], v[68:69]
	v_fma_f64 v[44:45], v[52:53], s[6:7], v[44:45]
	v_fma_f64 v[10:11], v[54:55], s[16:17], v[10:11]
	;; [unrolled: 1-line block ×10, first 2 shown]
	v_mul_f64 v[12:13], v[8:9], s[16:17]
	v_mul_f64 v[8:9], v[8:9], s[22:23]
	v_fma_f64 v[12:13], v[10:11], s[22:23], v[12:13]
	v_fma_f64 v[14:15], v[10:11], s[8:9], v[8:9]
	;; [unrolled: 1-line block ×15, first 2 shown]
	v_mul_f64 v[34:35], v[42:43], s[16:17]
	v_mul_f64 v[40:41], v[42:43], s[18:19]
	v_add_f64 v[10:11], v[18:19], v[14:15]
	v_add_f64 v[14:15], v[18:19], -v[14:15]
	v_add_f64 v[18:19], v[70:71], -v[78:79]
	v_add_f64 v[70:71], v[144:145], v[76:77]
	v_add_f64 v[8:9], v[16:17], v[12:13]
	v_add_f64 v[12:13], v[16:17], -v[12:13]
	v_add_f64 v[16:17], v[84:85], -v[140:141]
	v_fma_f64 v[42:43], v[32:33], s[18:19], v[34:35]
	v_fma_f64 v[40:41], v[32:33], s[8:9], v[40:41]
	v_fma_f64 v[70:71], v[70:71], -0.5, v[159:160]
	v_add_f64 v[72:73], v[16:17], v[18:19]
	v_fma_f64 v[18:19], v[54:55], s[6:7], v[30:31]
	v_add_f64 v[32:33], v[36:37], v[42:43]
	v_add_f64 v[34:35], v[38:39], v[40:41]
	v_add_f64 v[36:37], v[36:37], -v[42:43]
	v_fma_f64 v[16:17], v[50:51], s[12:13], v[70:71]
	v_add_f64 v[38:39], v[38:39], -v[40:41]
	v_fma_f64 v[18:19], v[52:53], s[16:17], v[18:19]
	v_fma_f64 v[16:17], v[48:49], s[8:9], v[16:17]
	;; [unrolled: 1-line block ×4, first 2 shown]
	v_mul_f64 v[20:21], v[16:17], s[12:13]
	v_mul_f64 v[16:17], v[16:17], s[14:15]
	v_fma_f64 v[20:21], v[18:19], s[14:15], v[20:21]
	v_fma_f64 v[22:23], v[18:19], s[6:7], v[16:17]
	;; [unrolled: 1-line block ×10, first 2 shown]
	v_add_f64 v[16:17], v[66:67], v[20:21]
	v_add_f64 v[20:21], v[66:67], -v[20:21]
	v_fma_f64 v[66:67], v[72:73], s[14:15], v[24:25]
	v_fma_f64 v[24:25], v[62:63], s[6:7], v[26:27]
	v_add_f64 v[18:19], v[68:69], v[22:23]
	v_add_f64 v[22:23], v[68:69], -v[22:23]
	v_fma_f64 v[26:27], v[54:55], s[12:13], v[30:31]
	v_fma_f64 v[24:25], v[60:61], s[16:17], v[24:25]
	;; [unrolled: 1-line block ×8, first 2 shown]
	v_mul_f64 v[28:29], v[24:25], s[12:13]
	v_mul_f64 v[24:25], v[24:25], s[20:21]
	v_fma_f64 v[28:29], v[26:27], s[20:21], v[28:29]
	v_fma_f64 v[30:31], v[26:27], s[6:7], v[24:25]
	v_add_f64 v[24:25], v[66:67], v[28:29]
	v_add_f64 v[26:27], v[68:69], v[30:31]
	v_add_f64 v[28:29], v[66:67], -v[28:29]
	v_add_f64 v[30:31], v[68:69], -v[30:31]
	ds_write_b128 v163, v[0:3]
	ds_write_b128 v163, v[8:11] offset:160
	ds_write_b128 v163, v[16:19] offset:320
	;; [unrolled: 1-line block ×9, first 2 shown]
	s_waitcnt lgkmcnt(0)
	s_barrier
	ds_read_b128 v[0:3], v164 offset:9600
	buffer_load_dword v6, off, s[44:47], 0 offset:832 ; 4-byte Folded Reload
	buffer_load_dword v7, off, s[44:47], 0 offset:836 ; 4-byte Folded Reload
	buffer_load_dword v8, off, s[44:47], 0 offset:840 ; 4-byte Folded Reload
	buffer_load_dword v9, off, s[44:47], 0 offset:844 ; 4-byte Folded Reload
	s_waitcnt vmcnt(0) lgkmcnt(0)
	v_mul_f64 v[4:5], v[8:9], v[2:3]
	v_fma_f64 v[4:5], v[6:7], v[0:1], v[4:5]
	v_mul_f64 v[0:1], v[8:9], v[0:1]
	v_fma_f64 v[6:7], v[6:7], v[2:3], -v[0:1]
	ds_read_b128 v[0:3], v164 offset:19200
	buffer_load_dword v10, off, s[44:47], 0 offset:864 ; 4-byte Folded Reload
	buffer_load_dword v11, off, s[44:47], 0 offset:868 ; 4-byte Folded Reload
	buffer_load_dword v12, off, s[44:47], 0 offset:872 ; 4-byte Folded Reload
	buffer_load_dword v13, off, s[44:47], 0 offset:876 ; 4-byte Folded Reload
	s_waitcnt vmcnt(0) lgkmcnt(0)
	v_mul_f64 v[8:9], v[12:13], v[2:3]
	v_fma_f64 v[8:9], v[10:11], v[0:1], v[8:9]
	v_mul_f64 v[0:1], v[12:13], v[0:1]
	v_fma_f64 v[10:11], v[10:11], v[2:3], -v[0:1]
	;; [unrolled: 10-line block ×20, first 2 shown]
	ds_read_b128 v[0:3], v164 offset:17280
	s_waitcnt lgkmcnt(0)
	v_mul_f64 v[12:13], v[250:251], v[2:3]
	v_fma_f64 v[40:41], v[248:249], v[0:1], v[12:13]
	v_mul_f64 v[0:1], v[250:251], v[0:1]
	v_fma_f64 v[44:45], v[248:249], v[2:3], -v[0:1]
	ds_read_b128 v[0:3], v164 offset:26880
	s_waitcnt lgkmcnt(0)
	v_mul_f64 v[12:13], v[246:247], v[2:3]
	v_fma_f64 v[42:43], v[244:245], v[0:1], v[12:13]
	v_mul_f64 v[0:1], v[246:247], v[0:1]
	v_fma_f64 v[46:47], v[244:245], v[2:3], -v[0:1]
	;; [unrolled: 6-line block ×4, first 2 shown]
	ds_read_b128 v[0:3], v164 offset:55680
	s_waitcnt lgkmcnt(0)
	v_mul_f64 v[12:13], v[234:235], v[2:3]
	v_fma_f64 v[58:59], v[232:233], v[0:1], v[12:13]
	v_mul_f64 v[0:1], v[234:235], v[0:1]
	v_add_f64 v[12:13], v[8:9], v[24:25]
	v_fma_f64 v[56:57], v[232:233], v[2:3], -v[0:1]
	ds_read_b128 v[0:3], v164
	s_waitcnt lgkmcnt(0)
	v_fma_f64 v[32:33], v[12:13], -0.5, v[0:1]
	v_add_f64 v[12:13], v[10:11], v[26:27]
	v_add_f64 v[0:1], v[0:1], v[8:9]
	v_add_f64 v[8:9], v[8:9], -v[24:25]
	v_fma_f64 v[34:35], v[12:13], -0.5, v[2:3]
	v_add_f64 v[12:13], v[4:5], v[20:21]
	v_add_f64 v[2:3], v[2:3], v[10:11]
	;; [unrolled: 1-line block ×3, first 2 shown]
	v_add_f64 v[10:11], v[10:11], -v[26:27]
	v_add_f64 v[16:17], v[12:13], v[28:29]
	v_add_f64 v[12:13], v[6:7], v[22:23]
	;; [unrolled: 1-line block ×5, first 2 shown]
	v_add_f64 v[16:17], v[0:1], -v[16:17]
	v_add_f64 v[0:1], v[22:23], v[30:31]
	v_add_f64 v[14:15], v[2:3], v[18:19]
	v_add_f64 v[18:19], v[2:3], -v[18:19]
	v_add_f64 v[2:3], v[20:21], v[28:29]
	v_fma_f64 v[0:1], v[0:1], -0.5, v[6:7]
	v_add_f64 v[6:7], v[20:21], -v[28:29]
	v_fma_f64 v[2:3], v[2:3], -0.5, v[4:5]
	v_add_f64 v[4:5], v[22:23], -v[30:31]
	v_fma_f64 v[20:21], v[6:7], s[10:11], v[0:1]
	v_fma_f64 v[0:1], v[6:7], s[24:25], v[0:1]
	;; [unrolled: 1-line block ×6, first 2 shown]
	v_mul_f64 v[22:23], v[20:21], s[24:25]
	v_mul_f64 v[20:21], v[20:21], 0.5
	v_fma_f64 v[2:3], v[4:5], s[10:11], v[2:3]
	v_mul_f64 v[4:5], v[0:1], s[24:25]
	v_mul_f64 v[0:1], v[0:1], -0.5
	v_fma_f64 v[22:23], v[24:25], 0.5, v[22:23]
	v_fma_f64 v[28:29], v[24:25], s[10:11], v[20:21]
	v_fma_f64 v[20:21], v[10:11], s[24:25], v[32:33]
	v_fma_f64 v[4:5], v[2:3], -0.5, v[4:5]
	v_fma_f64 v[0:1], v[2:3], s[10:11], v[0:1]
	v_add_f64 v[26:27], v[30:31], v[28:29]
	v_add_f64 v[24:25], v[20:21], v[22:23]
	v_add_f64 v[20:21], v[20:21], -v[22:23]
	v_add_f64 v[22:23], v[30:31], -v[28:29]
	v_add_f64 v[36:37], v[6:7], v[4:5]
	v_add_f64 v[38:39], v[8:9], v[0:1]
	v_add_f64 v[28:29], v[6:7], -v[4:5]
	v_add_f64 v[30:31], v[8:9], -v[0:1]
	ds_read_b128 v[32:35], v164 offset:1920
	ds_read_b128 v[8:11], v164 offset:3840
	ds_read_b128 v[4:7], v164 offset:5760
	ds_read_b128 v[0:3], v164 offset:7680
	s_waitcnt lgkmcnt(0)
	s_barrier
	buffer_load_dword v120, off, s[44:47], 0 offset:1392 ; 4-byte Folded Reload
	s_waitcnt vmcnt(0)
	ds_write_b128 v120, v[12:15]
	ds_write_b128 v120, v[24:27] offset:1600
	ds_write_b128 v120, v[36:39] offset:3200
	;; [unrolled: 1-line block ×5, first 2 shown]
	v_add_f64 v[12:13], v[102:103], v[112:113]
	v_add_f64 v[14:15], v[34:35], v[106:107]
	v_add_f64 v[38:39], v[102:103], -v[112:113]
	v_add_f64 v[36:37], v[106:107], -v[114:115]
	v_fma_f64 v[28:29], v[12:13], -0.5, v[32:33]
	v_add_f64 v[12:13], v[106:107], v[114:115]
	v_add_f64 v[18:19], v[14:15], v[114:115]
	v_fma_f64 v[30:31], v[12:13], -0.5, v[34:35]
	v_add_f64 v[12:13], v[32:33], v[102:103]
	v_add_f64 v[34:35], v[110:111], -v[118:119]
	v_add_f64 v[102:103], v[108:109], -v[116:117]
	v_fma_f64 v[106:107], v[38:39], s[10:11], v[30:31]
	v_add_f64 v[16:17], v[12:13], v[112:113]
	v_add_f64 v[12:13], v[100:101], v[110:111]
	;; [unrolled: 1-line block ×6, first 2 shown]
	v_add_f64 v[16:17], v[16:17], -v[20:21]
	v_add_f64 v[20:21], v[108:109], v[116:117]
	v_add_f64 v[14:15], v[18:19], v[22:23]
	v_add_f64 v[18:19], v[18:19], -v[22:23]
	v_fma_f64 v[32:33], v[20:21], -0.5, v[104:105]
	v_add_f64 v[20:21], v[110:111], v[118:119]
	v_fma_f64 v[100:101], v[20:21], -0.5, v[100:101]
	v_fma_f64 v[20:21], v[34:35], s[10:11], v[32:33]
	v_fma_f64 v[32:33], v[34:35], s[24:25], v[32:33]
	v_fma_f64 v[34:35], v[36:37], s[10:11], v[28:29]
	v_fma_f64 v[24:25], v[102:103], s[24:25], v[100:101]
	v_mul_f64 v[22:23], v[20:21], s[24:25]
	v_mul_f64 v[20:21], v[20:21], 0.5
	v_fma_f64 v[26:27], v[24:25], 0.5, v[22:23]
	v_fma_f64 v[104:105], v[24:25], s[10:11], v[20:21]
	v_fma_f64 v[24:25], v[36:37], s[24:25], v[28:29]
	;; [unrolled: 1-line block ×4, first 2 shown]
	v_mul_f64 v[30:31], v[32:33], s[24:25]
	v_mul_f64 v[32:33], v[32:33], -0.5
	v_add_f64 v[22:23], v[106:107], v[104:105]
	v_add_f64 v[20:21], v[24:25], v[26:27]
	v_add_f64 v[24:25], v[24:25], -v[26:27]
	v_add_f64 v[26:27], v[106:107], -v[104:105]
	v_fma_f64 v[38:39], v[28:29], -0.5, v[30:31]
	v_fma_f64 v[100:101], v[28:29], s[10:11], v[32:33]
	v_add_f64 v[28:29], v[34:35], v[38:39]
	v_add_f64 v[30:31], v[36:37], v[100:101]
	v_add_f64 v[32:33], v[34:35], -v[38:39]
	v_add_f64 v[34:35], v[36:37], -v[100:101]
	buffer_load_dword v36, off, s[44:47], 0 offset:1388 ; 4-byte Folded Reload
	s_waitcnt vmcnt(0)
	ds_write_b128 v36, v[12:15]
	ds_write_b128 v36, v[20:23] offset:1600
	ds_write_b128 v36, v[28:31] offset:3200
	;; [unrolled: 1-line block ×5, first 2 shown]
	v_add_f64 v[12:13], v[84:85], v[92:93]
	v_add_f64 v[30:31], v[90:91], -v[98:99]
	v_add_f64 v[38:39], v[88:89], -v[96:97]
	;; [unrolled: 1-line block ×4, first 2 shown]
	v_fma_f64 v[24:25], v[12:13], -0.5, v[8:9]
	v_add_f64 v[12:13], v[86:87], v[94:95]
	v_add_f64 v[8:9], v[8:9], v[84:85]
	v_fma_f64 v[26:27], v[12:13], -0.5, v[10:11]
	v_add_f64 v[12:13], v[8:9], v[92:93]
	v_add_f64 v[8:9], v[80:81], v[90:91]
	;; [unrolled: 1-line block ×8, first 2 shown]
	v_add_f64 v[12:13], v[12:13], -v[16:17]
	v_add_f64 v[16:17], v[88:89], v[96:97]
	v_add_f64 v[10:11], v[14:15], v[18:19]
	v_add_f64 v[14:15], v[14:15], -v[18:19]
	v_fma_f64 v[28:29], v[16:17], -0.5, v[82:83]
	v_add_f64 v[16:17], v[90:91], v[98:99]
	v_fma_f64 v[82:83], v[34:35], s[10:11], v[26:27]
	v_fma_f64 v[36:37], v[16:17], -0.5, v[80:81]
	v_fma_f64 v[16:17], v[30:31], s[10:11], v[28:29]
	v_fma_f64 v[28:29], v[30:31], s[24:25], v[28:29]
	;; [unrolled: 1-line block ×4, first 2 shown]
	v_mul_f64 v[18:19], v[16:17], s[24:25]
	v_mul_f64 v[16:17], v[16:17], 0.5
	v_fma_f64 v[22:23], v[20:21], 0.5, v[18:19]
	v_fma_f64 v[80:81], v[20:21], s[10:11], v[16:17]
	v_fma_f64 v[20:21], v[32:33], s[24:25], v[24:25]
	;; [unrolled: 1-line block ×4, first 2 shown]
	v_mul_f64 v[26:27], v[28:29], s[24:25]
	v_mul_f64 v[28:29], v[28:29], -0.5
	v_add_f64 v[18:19], v[82:83], v[80:81]
	v_add_f64 v[16:17], v[20:21], v[22:23]
	v_add_f64 v[20:21], v[20:21], -v[22:23]
	v_add_f64 v[22:23], v[82:83], -v[80:81]
	v_fma_f64 v[34:35], v[24:25], -0.5, v[26:27]
	v_fma_f64 v[36:37], v[24:25], s[10:11], v[28:29]
	v_add_f64 v[24:25], v[30:31], v[34:35]
	v_add_f64 v[26:27], v[32:33], v[36:37]
	v_add_f64 v[28:29], v[30:31], -v[34:35]
	v_add_f64 v[30:31], v[32:33], -v[36:37]
	buffer_load_dword v32, off, s[44:47], 0 offset:1384 ; 4-byte Folded Reload
	s_waitcnt vmcnt(0)
	ds_write_b128 v32, v[8:11]
	ds_write_b128 v32, v[16:19] offset:1600
	ds_write_b128 v32, v[24:27] offset:3200
	;; [unrolled: 1-line block ×5, first 2 shown]
	v_add_f64 v[8:9], v[62:63], v[72:73]
	v_add_f64 v[26:27], v[70:71], -v[78:79]
	v_add_f64 v[34:35], v[68:69], -v[76:77]
	;; [unrolled: 1-line block ×4, first 2 shown]
	v_fma_f64 v[20:21], v[8:9], -0.5, v[4:5]
	v_add_f64 v[8:9], v[66:67], v[74:75]
	v_add_f64 v[4:5], v[4:5], v[62:63]
	v_fma_f64 v[22:23], v[8:9], -0.5, v[6:7]
	v_add_f64 v[8:9], v[4:5], v[72:73]
	v_add_f64 v[4:5], v[60:61], v[70:71]
	;; [unrolled: 1-line block ×3, first 2 shown]
	v_fma_f64 v[38:39], v[30:31], s[10:11], v[22:23]
	v_add_f64 v[12:13], v[4:5], v[78:79]
	v_add_f64 v[4:5], v[64:65], v[68:69]
	;; [unrolled: 1-line block ×5, first 2 shown]
	v_add_f64 v[8:9], v[8:9], -v[12:13]
	v_add_f64 v[12:13], v[68:69], v[76:77]
	v_add_f64 v[6:7], v[10:11], v[14:15]
	v_add_f64 v[10:11], v[10:11], -v[14:15]
	v_fma_f64 v[24:25], v[12:13], -0.5, v[64:65]
	v_add_f64 v[12:13], v[70:71], v[78:79]
	v_fma_f64 v[32:33], v[12:13], -0.5, v[60:61]
	v_fma_f64 v[12:13], v[26:27], s[10:11], v[24:25]
	v_fma_f64 v[24:25], v[26:27], s[24:25], v[24:25]
	v_fma_f64 v[26:27], v[28:29], s[10:11], v[20:21]
	v_fma_f64 v[16:17], v[34:35], s[24:25], v[32:33]
	v_mul_f64 v[14:15], v[12:13], s[24:25]
	v_mul_f64 v[12:13], v[12:13], 0.5
	v_fma_f64 v[18:19], v[16:17], 0.5, v[14:15]
	v_fma_f64 v[36:37], v[16:17], s[10:11], v[12:13]
	v_fma_f64 v[16:17], v[28:29], s[24:25], v[20:21]
	;; [unrolled: 1-line block ×4, first 2 shown]
	v_mul_f64 v[22:23], v[24:25], s[24:25]
	v_mul_f64 v[24:25], v[24:25], -0.5
	v_add_f64 v[14:15], v[38:39], v[36:37]
	v_add_f64 v[12:13], v[16:17], v[18:19]
	v_add_f64 v[16:17], v[16:17], -v[18:19]
	v_add_f64 v[18:19], v[38:39], -v[36:37]
	v_fma_f64 v[30:31], v[20:21], -0.5, v[22:23]
	v_fma_f64 v[32:33], v[20:21], s[10:11], v[24:25]
	v_add_f64 v[20:21], v[26:27], v[30:31]
	v_add_f64 v[22:23], v[28:29], v[32:33]
	v_add_f64 v[24:25], v[26:27], -v[30:31]
	v_add_f64 v[26:27], v[28:29], -v[32:33]
	buffer_load_dword v28, off, s[44:47], 0 offset:1380 ; 4-byte Folded Reload
	s_waitcnt vmcnt(0)
	ds_write_b128 v28, v[4:7]
	ds_write_b128 v28, v[12:15] offset:1600
	ds_write_b128 v28, v[20:23] offset:3200
	ds_write_b128 v28, v[8:11] offset:4800
	ds_write_b128 v28, v[16:19] offset:6400
	ds_write_b128 v28, v[24:27] offset:8000
	v_add_f64 v[4:5], v[42:43], v[52:53]
	v_add_f64 v[22:23], v[50:51], -v[58:59]
	v_add_f64 v[30:31], v[48:49], -v[56:57]
	v_add_f64 v[24:25], v[46:47], -v[54:55]
	v_add_f64 v[26:27], v[42:43], -v[52:53]
	v_fma_f64 v[16:17], v[4:5], -0.5, v[0:1]
	v_add_f64 v[4:5], v[46:47], v[54:55]
	v_add_f64 v[0:1], v[0:1], v[42:43]
	v_fma_f64 v[18:19], v[4:5], -0.5, v[2:3]
	v_add_f64 v[4:5], v[0:1], v[52:53]
	v_add_f64 v[0:1], v[40:41], v[50:51]
	;; [unrolled: 1-line block ×3, first 2 shown]
	v_fma_f64 v[34:35], v[26:27], s[10:11], v[18:19]
	v_add_f64 v[8:9], v[0:1], v[58:59]
	v_add_f64 v[0:1], v[44:45], v[48:49]
	;; [unrolled: 1-line block ×5, first 2 shown]
	v_add_f64 v[4:5], v[4:5], -v[8:9]
	v_add_f64 v[8:9], v[48:49], v[56:57]
	v_add_f64 v[2:3], v[6:7], v[10:11]
	v_add_f64 v[6:7], v[6:7], -v[10:11]
	v_fma_f64 v[20:21], v[8:9], -0.5, v[44:45]
	v_add_f64 v[8:9], v[50:51], v[58:59]
	v_fma_f64 v[28:29], v[8:9], -0.5, v[40:41]
	v_fma_f64 v[8:9], v[22:23], s[10:11], v[20:21]
	v_fma_f64 v[20:21], v[22:23], s[24:25], v[20:21]
	;; [unrolled: 1-line block ×4, first 2 shown]
	v_mul_f64 v[10:11], v[8:9], s[24:25]
	v_mul_f64 v[8:9], v[8:9], 0.5
	v_fma_f64 v[14:15], v[12:13], 0.5, v[10:11]
	v_fma_f64 v[32:33], v[12:13], s[10:11], v[8:9]
	v_fma_f64 v[12:13], v[24:25], s[24:25], v[16:17]
	;; [unrolled: 1-line block ×4, first 2 shown]
	v_mul_f64 v[18:19], v[20:21], s[24:25]
	v_mul_f64 v[20:21], v[20:21], -0.5
	v_add_f64 v[10:11], v[34:35], v[32:33]
	v_add_f64 v[8:9], v[12:13], v[14:15]
	v_add_f64 v[12:13], v[12:13], -v[14:15]
	v_add_f64 v[14:15], v[34:35], -v[32:33]
	v_fma_f64 v[26:27], v[16:17], -0.5, v[18:19]
	v_fma_f64 v[28:29], v[16:17], s[10:11], v[20:21]
	v_add_f64 v[16:17], v[22:23], v[26:27]
	v_add_f64 v[18:19], v[24:25], v[28:29]
	v_add_f64 v[20:21], v[22:23], -v[26:27]
	v_add_f64 v[22:23], v[24:25], -v[28:29]
	buffer_load_dword v24, off, s[44:47], 0 offset:1168 ; 4-byte Folded Reload
	s_waitcnt vmcnt(0)
	ds_write_b128 v24, v[0:3]
	ds_write_b128 v24, v[8:11] offset:1600
	ds_write_b128 v24, v[16:19] offset:3200
	;; [unrolled: 1-line block ×5, first 2 shown]
	s_waitcnt lgkmcnt(0)
	s_barrier
	ds_read_b128 v[0:3], v164 offset:9600
	ds_read_b128 v[4:7], v164 offset:19200
	buffer_load_dword v18, off, s[44:47], 0 offset:1284 ; 4-byte Folded Reload
	buffer_load_dword v19, off, s[44:47], 0 offset:1288 ; 4-byte Folded Reload
	;; [unrolled: 1-line block ×4, first 2 shown]
	s_waitcnt vmcnt(0) lgkmcnt(1)
	v_mul_f64 v[8:9], v[20:21], v[2:3]
	v_mul_f64 v[10:11], v[20:21], v[0:1]
	buffer_load_dword v20, off, s[44:47], 0 offset:1316 ; 4-byte Folded Reload
	buffer_load_dword v21, off, s[44:47], 0 offset:1320 ; 4-byte Folded Reload
	buffer_load_dword v22, off, s[44:47], 0 offset:1324 ; 4-byte Folded Reload
	buffer_load_dword v23, off, s[44:47], 0 offset:1328 ; 4-byte Folded Reload
	v_fma_f64 v[16:17], v[18:19], v[0:1], v[8:9]
	v_fma_f64 v[18:19], v[18:19], v[2:3], -v[10:11]
	ds_read_b128 v[0:3], v164 offset:28800
	ds_read_b128 v[8:11], v164 offset:38400
	s_waitcnt vmcnt(0) lgkmcnt(2)
	v_mul_f64 v[12:13], v[22:23], v[6:7]
	v_mul_f64 v[14:15], v[22:23], v[4:5]
	v_fma_f64 v[12:13], v[20:21], v[4:5], v[12:13]
	v_fma_f64 v[14:15], v[20:21], v[6:7], -v[14:15]
	buffer_load_dword v20, off, s[44:47], 0 offset:1252 ; 4-byte Folded Reload
	buffer_load_dword v21, off, s[44:47], 0 offset:1256 ; 4-byte Folded Reload
	;; [unrolled: 1-line block ×8, first 2 shown]
	s_waitcnt vmcnt(4) lgkmcnt(1)
	v_mul_f64 v[4:5], v[22:23], v[2:3]
	v_mul_f64 v[6:7], v[22:23], v[0:1]
	v_mov_b32_e32 v27, v21
	v_mov_b32_e32 v26, v20
	s_waitcnt vmcnt(0) lgkmcnt(0)
	v_mul_f64 v[20:21], v[32:33], v[10:11]
	v_mul_f64 v[22:23], v[32:33], v[8:9]
	v_fma_f64 v[24:25], v[26:27], v[0:1], v[4:5]
	v_fma_f64 v[28:29], v[26:27], v[2:3], -v[6:7]
	ds_read_b128 v[0:3], v164 offset:48000
	ds_read_b128 v[4:7], v164 offset:11520
	buffer_load_dword v34, off, s[44:47], 0 offset:1236 ; 4-byte Folded Reload
	buffer_load_dword v35, off, s[44:47], 0 offset:1240 ; 4-byte Folded Reload
	;; [unrolled: 1-line block ×4, first 2 shown]
	v_fma_f64 v[20:21], v[30:31], v[8:9], v[20:21]
	v_fma_f64 v[22:23], v[30:31], v[10:11], -v[22:23]
	buffer_load_dword v38, off, s[44:47], 0 offset:1348 ; 4-byte Folded Reload
	buffer_load_dword v39, off, s[44:47], 0 offset:1352 ; 4-byte Folded Reload
	;; [unrolled: 1-line block ×4, first 2 shown]
	v_add_f64 v[116:117], v[14:15], -v[22:23]
	s_waitcnt vmcnt(4) lgkmcnt(1)
	v_mul_f64 v[8:9], v[36:37], v[2:3]
	v_mul_f64 v[10:11], v[36:37], v[0:1]
	s_waitcnt vmcnt(0) lgkmcnt(0)
	v_mul_f64 v[26:27], v[40:41], v[6:7]
	v_mul_f64 v[30:31], v[40:41], v[4:5]
	v_fma_f64 v[32:33], v[34:35], v[0:1], v[8:9]
	v_fma_f64 v[34:35], v[34:35], v[2:3], -v[10:11]
	ds_read_b128 v[0:3], v164 offset:21120
	ds_read_b128 v[8:11], v164 offset:30720
	buffer_load_dword v42, off, s[44:47], 0 offset:1364 ; 4-byte Folded Reload
	buffer_load_dword v43, off, s[44:47], 0 offset:1368 ; 4-byte Folded Reload
	;; [unrolled: 1-line block ×4, first 2 shown]
	v_fma_f64 v[36:37], v[38:39], v[4:5], v[26:27]
	v_fma_f64 v[30:31], v[38:39], v[6:7], -v[30:31]
	s_waitcnt lgkmcnt(0)
	v_mul_f64 v[26:27], v[254:255], v[10:11]
	v_mul_f64 v[38:39], v[254:255], v[8:9]
	v_add_f64 v[106:107], v[28:29], v[34:35]
	v_fma_f64 v[38:39], v[252:253], v[10:11], -v[38:39]
	s_waitcnt vmcnt(0)
	v_mul_f64 v[4:5], v[44:45], v[2:3]
	v_mul_f64 v[6:7], v[44:45], v[0:1]
	v_fma_f64 v[44:45], v[252:253], v[8:9], v[26:27]
	v_fma_f64 v[40:41], v[42:43], v[0:1], v[4:5]
	v_fma_f64 v[42:43], v[42:43], v[2:3], -v[6:7]
	ds_read_b128 v[0:3], v164 offset:40320
	ds_read_b128 v[4:7], v164 offset:49920
	buffer_load_dword v48, off, s[44:47], 0 offset:1332 ; 4-byte Folded Reload
	buffer_load_dword v49, off, s[44:47], 0 offset:1336 ; 4-byte Folded Reload
	;; [unrolled: 1-line block ×4, first 2 shown]
	s_waitcnt lgkmcnt(0)
	v_mul_f64 v[26:27], v[230:231], v[6:7]
	v_mul_f64 v[46:47], v[230:231], v[4:5]
	v_fma_f64 v[110:111], v[228:229], v[4:5], v[26:27]
	v_fma_f64 v[46:47], v[228:229], v[6:7], -v[46:47]
	s_waitcnt vmcnt(0)
	v_mul_f64 v[8:9], v[50:51], v[2:3]
	v_mul_f64 v[10:11], v[50:51], v[0:1]
	v_fma_f64 v[108:109], v[48:49], v[0:1], v[8:9]
	v_fma_f64 v[104:105], v[48:49], v[2:3], -v[10:11]
	ds_read_b128 v[0:3], v164 offset:13440
	ds_read_b128 v[8:11], v164 offset:23040
	s_waitcnt lgkmcnt(1)
	v_mul_f64 v[4:5], v[226:227], v[2:3]
	v_mul_f64 v[6:7], v[226:227], v[0:1]
	s_waitcnt lgkmcnt(0)
	v_mul_f64 v[26:27], v[218:219], v[10:11]
	v_mul_f64 v[48:49], v[218:219], v[8:9]
	v_add_f64 v[120:121], v[40:41], v[108:109]
	v_fma_f64 v[94:95], v[224:225], v[0:1], v[4:5]
	v_fma_f64 v[90:91], v[224:225], v[2:3], -v[6:7]
	ds_read_b128 v[0:3], v164 offset:32640
	ds_read_b128 v[4:7], v164 offset:42240
	v_fma_f64 v[92:93], v[216:217], v[8:9], v[26:27]
	v_fma_f64 v[112:113], v[216:217], v[10:11], -v[48:49]
	s_waitcnt lgkmcnt(1)
	v_mul_f64 v[8:9], v[222:223], v[2:3]
	v_mul_f64 v[10:11], v[222:223], v[0:1]
	s_waitcnt lgkmcnt(0)
	v_mul_f64 v[26:27], v[210:211], v[6:7]
	v_mul_f64 v[48:49], v[210:211], v[4:5]
	v_fma_f64 v[100:101], v[220:221], v[0:1], v[8:9]
	v_fma_f64 v[96:97], v[220:221], v[2:3], -v[10:11]
	ds_read_b128 v[0:3], v164 offset:51840
	ds_read_b128 v[8:11], v164 offset:15360
	v_fma_f64 v[98:99], v[208:209], v[4:5], v[26:27]
	v_fma_f64 v[114:115], v[208:209], v[6:7], -v[48:49]
	s_waitcnt lgkmcnt(1)
	v_mul_f64 v[4:5], v[214:215], v[2:3]
	v_mul_f64 v[6:7], v[214:215], v[0:1]
	s_waitcnt lgkmcnt(0)
	v_mul_f64 v[26:27], v[206:207], v[10:11]
	v_mul_f64 v[48:49], v[206:207], v[8:9]
	;; [unrolled: 12-line block ×6, first 2 shown]
	v_fma_f64 v[58:59], v[172:173], v[0:1], v[4:5]
	v_fma_f64 v[56:57], v[172:173], v[2:3], -v[6:7]
	ds_read_b128 v[0:3], v164 offset:55680
	ds_read_b128 v[4:7], v164
	v_fma_f64 v[60:61], v[176:177], v[8:9], v[26:27]
	v_add_f64 v[8:9], v[12:13], v[20:21]
	v_fma_f64 v[62:63], v[176:177], v[10:11], -v[62:63]
	s_waitcnt lgkmcnt(1)
	v_mul_f64 v[10:11], v[186:187], v[2:3]
	v_mul_f64 v[26:27], v[186:187], v[0:1]
	s_waitcnt lgkmcnt(0)
	v_fma_f64 v[8:9], v[8:9], -0.5, v[4:5]
	v_add_f64 v[4:5], v[4:5], v[12:13]
	v_fma_f64 v[66:67], v[184:185], v[0:1], v[10:11]
	v_fma_f64 v[64:65], v[184:185], v[2:3], -v[26:27]
	v_add_f64 v[0:1], v[14:15], v[22:23]
	v_add_f64 v[2:3], v[24:25], v[32:33]
	v_fma_f64 v[10:11], v[106:107], -0.5, v[18:19]
	v_add_f64 v[106:107], v[24:25], -v[32:33]
	v_add_f64 v[14:15], v[6:7], v[14:15]
	v_fma_f64 v[118:119], v[116:117], s[24:25], v[8:9]
	v_fma_f64 v[8:9], v[116:117], s[10:11], v[8:9]
	v_add_f64 v[4:5], v[4:5], v[20:21]
	v_fma_f64 v[0:1], v[0:1], -0.5, v[6:7]
	v_fma_f64 v[2:3], v[2:3], -0.5, v[16:17]
	v_add_f64 v[6:7], v[28:29], -v[34:35]
	v_fma_f64 v[116:117], v[106:107], s[10:11], v[10:11]
	v_fma_f64 v[10:11], v[106:107], s[24:25], v[10:11]
	v_add_f64 v[14:15], v[14:15], v[22:23]
	v_add_f64 v[16:17], v[16:17], v[24:25]
	v_add_f64 v[12:13], v[12:13], -v[20:21]
	v_add_f64 v[18:19], v[18:19], v[28:29]
	ds_read_b128 v[24:27], v164 offset:1920
	v_fma_f64 v[20:21], v[6:7], s[24:25], v[2:3]
	v_mul_f64 v[22:23], v[116:117], s[24:25]
	v_mul_f64 v[28:29], v[116:117], 0.5
	v_fma_f64 v[2:3], v[6:7], s[10:11], v[2:3]
	v_mul_f64 v[6:7], v[10:11], s[24:25]
	v_mul_f64 v[10:11], v[10:11], -0.5
	v_add_f64 v[32:33], v[16:17], v[32:33]
	v_add_f64 v[34:35], v[18:19], v[34:35]
	v_fma_f64 v[106:107], v[12:13], s[10:11], v[0:1]
	v_fma_f64 v[22:23], v[20:21], 0.5, v[22:23]
	v_fma_f64 v[20:21], v[20:21], s[10:11], v[28:29]
	v_fma_f64 v[28:29], v[12:13], s[24:25], v[0:1]
	v_fma_f64 v[116:117], v[2:3], -0.5, v[6:7]
	v_fma_f64 v[10:11], v[2:3], s[10:11], v[10:11]
	v_add_f64 v[0:1], v[4:5], v[32:33]
	v_add_f64 v[2:3], v[14:15], v[34:35]
	v_add_f64 v[12:13], v[4:5], -v[32:33]
	v_add_f64 v[16:17], v[118:119], v[22:23]
	v_add_f64 v[4:5], v[118:119], -v[22:23]
	v_add_f64 v[14:15], v[14:15], -v[34:35]
	s_waitcnt lgkmcnt(0)
	v_fma_f64 v[32:33], v[120:121], -0.5, v[24:25]
	v_add_f64 v[34:35], v[42:43], -v[104:105]
	v_add_f64 v[22:23], v[28:29], v[10:11]
	v_add_f64 v[10:11], v[28:29], -v[10:11]
	v_add_f64 v[28:29], v[38:39], v[46:47]
	v_add_f64 v[18:19], v[106:107], v[20:21]
	v_add_f64 v[6:7], v[106:107], -v[20:21]
	v_add_f64 v[20:21], v[8:9], v[116:117]
	v_add_f64 v[8:9], v[8:9], -v[116:117]
	v_add_f64 v[106:107], v[42:43], v[104:105]
	v_fma_f64 v[116:117], v[34:35], s[24:25], v[32:33]
	v_fma_f64 v[118:119], v[34:35], s[10:11], v[32:33]
	v_add_f64 v[32:33], v[26:27], v[42:43]
	v_add_f64 v[34:35], v[44:45], v[110:111]
	v_fma_f64 v[28:29], v[28:29], -0.5, v[30:31]
	v_add_f64 v[42:43], v[44:45], -v[110:111]
	v_add_f64 v[24:25], v[24:25], v[40:41]
	v_add_f64 v[44:45], v[36:37], v[44:45]
	v_fma_f64 v[26:27], v[106:107], -0.5, v[26:27]
	v_add_f64 v[30:31], v[30:31], v[38:39]
	v_add_f64 v[32:33], v[32:33], v[104:105]
	v_fma_f64 v[34:35], v[34:35], -0.5, v[36:37]
	v_add_f64 v[36:37], v[38:39], -v[46:47]
	v_fma_f64 v[120:121], v[42:43], s[10:11], v[28:29]
	v_fma_f64 v[28:29], v[42:43], s[24:25], v[28:29]
	v_add_f64 v[38:39], v[24:25], v[108:109]
	v_add_f64 v[24:25], v[40:41], -v[108:109]
	v_add_f64 v[40:41], v[44:45], v[110:111]
	v_add_f64 v[30:31], v[30:31], v[46:47]
	ds_read_b128 v[104:107], v164 offset:3840
	v_fma_f64 v[42:43], v[36:37], s[24:25], v[34:35]
	v_mul_f64 v[44:45], v[120:121], s[24:25]
	v_mul_f64 v[108:109], v[120:121], 0.5
	v_fma_f64 v[34:35], v[36:37], s[10:11], v[34:35]
	v_mul_f64 v[36:37], v[28:29], s[24:25]
	v_mul_f64 v[28:29], v[28:29], -0.5
	v_fma_f64 v[46:47], v[24:25], s[10:11], v[26:27]
	v_fma_f64 v[110:111], v[24:25], s[24:25], v[26:27]
	v_add_f64 v[120:121], v[92:93], v[98:99]
	v_fma_f64 v[44:45], v[42:43], 0.5, v[44:45]
	v_fma_f64 v[42:43], v[42:43], s[10:11], v[108:109]
	v_add_f64 v[24:25], v[38:39], v[40:41]
	v_fma_f64 v[36:37], v[34:35], -0.5, v[36:37]
	v_fma_f64 v[108:109], v[34:35], s[10:11], v[28:29]
	v_add_f64 v[26:27], v[32:33], v[30:31]
	v_add_f64 v[28:29], v[38:39], -v[40:41]
	v_add_f64 v[30:31], v[32:33], -v[30:31]
	v_add_f64 v[32:33], v[116:117], v[44:45]
	v_add_f64 v[34:35], v[46:47], v[42:43]
	v_add_f64 v[40:41], v[116:117], -v[44:45]
	v_add_f64 v[42:43], v[46:47], -v[42:43]
	v_add_f64 v[46:47], v[110:111], v[108:109]
	v_add_f64 v[38:39], v[110:111], -v[108:109]
	v_add_f64 v[108:109], v[112:113], v[114:115]
	s_waitcnt lgkmcnt(0)
	v_fma_f64 v[110:111], v[120:121], -0.5, v[104:105]
	v_add_f64 v[116:117], v[112:113], -v[114:115]
	v_add_f64 v[112:113], v[106:107], v[112:113]
	v_add_f64 v[44:45], v[118:119], v[36:37]
	v_add_f64 v[36:37], v[118:119], -v[36:37]
	v_add_f64 v[104:105], v[104:105], v[92:93]
	v_add_f64 v[92:93], v[92:93], -v[98:99]
	v_fma_f64 v[106:107], v[108:109], -0.5, v[106:107]
	ds_write_b128 v164, v[0:3]
	v_fma_f64 v[108:109], v[116:117], s[24:25], v[110:111]
	v_fma_f64 v[110:111], v[116:117], s[10:11], v[110:111]
	v_add_f64 v[116:117], v[100:101], v[102:103]
	v_add_f64 v[112:113], v[112:113], v[114:115]
	;; [unrolled: 1-line block ×4, first 2 shown]
	v_fma_f64 v[120:121], v[92:93], s[10:11], v[106:107]
	v_fma_f64 v[122:123], v[92:93], s[24:25], v[106:107]
	v_fma_f64 v[116:117], v[116:117], -0.5, v[94:95]
	v_add_f64 v[94:95], v[94:95], v[100:101]
	v_fma_f64 v[114:115], v[114:115], -0.5, v[90:91]
	v_add_f64 v[100:101], v[100:101], -v[102:103]
	v_add_f64 v[90:91], v[90:91], v[96:97]
	v_add_f64 v[96:97], v[96:97], -v[88:89]
	v_add_f64 v[94:95], v[94:95], v[102:103]
	v_fma_f64 v[118:119], v[100:101], s[10:11], v[114:115]
	v_fma_f64 v[100:101], v[100:101], s[24:25], v[114:115]
	;; [unrolled: 1-line block ×4, first 2 shown]
	v_add_f64 v[92:93], v[104:105], -v[94:95]
	v_mul_f64 v[102:103], v[118:119], s[24:25]
	v_mul_f64 v[114:115], v[118:119], 0.5
	v_mul_f64 v[116:117], v[100:101], s[24:25]
	v_add_f64 v[118:119], v[90:91], v[88:89]
	v_mul_f64 v[100:101], v[100:101], -0.5
	v_add_f64 v[88:89], v[104:105], v[94:95]
	v_fma_f64 v[102:103], v[98:99], 0.5, v[102:103]
	v_fma_f64 v[106:107], v[98:99], s[10:11], v[114:115]
	v_fma_f64 v[114:115], v[96:97], -0.5, v[116:117]
	v_add_f64 v[90:91], v[112:113], v[118:119]
	v_fma_f64 v[116:117], v[96:97], s[10:11], v[100:101]
	v_add_f64 v[94:95], v[112:113], -v[118:119]
	v_add_f64 v[118:119], v[72:73], v[80:81]
	v_add_f64 v[96:97], v[108:109], v[102:103]
	v_add_f64 v[100:101], v[108:109], -v[102:103]
	v_add_f64 v[104:105], v[110:111], v[114:115]
	v_add_f64 v[108:109], v[110:111], -v[114:115]
	ds_read_b128 v[112:115], v164 offset:5760
	v_add_f64 v[98:99], v[120:121], v[106:107]
	v_add_f64 v[102:103], v[120:121], -v[106:107]
	v_add_f64 v[106:107], v[122:123], v[116:117]
	v_add_f64 v[110:111], v[122:123], -v[116:117]
	s_waitcnt lgkmcnt(0)
	v_fma_f64 v[120:121], v[118:119], -0.5, v[112:113]
	v_add_f64 v[116:117], v[74:75], v[82:83]
	v_add_f64 v[112:113], v[112:113], v[72:73]
	v_fma_f64 v[122:123], v[116:117], -0.5, v[114:115]
	v_add_f64 v[116:117], v[112:113], v[80:81]
	v_add_f64 v[112:113], v[68:69], v[78:79]
	;; [unrolled: 1-line block ×3, first 2 shown]
	v_add_f64 v[80:81], v[72:73], -v[80:81]
	v_add_f64 v[124:125], v[112:113], v[86:87]
	v_add_f64 v[112:113], v[70:71], v[76:77]
	;; [unrolled: 1-line block ×3, first 2 shown]
	v_add_f64 v[82:83], v[74:75], -v[82:83]
	v_add_f64 v[126:127], v[112:113], v[84:85]
	v_add_f64 v[112:113], v[116:117], v[124:125]
	v_add_f64 v[116:117], v[116:117], -v[124:125]
	v_add_f64 v[124:125], v[76:77], v[84:85]
	v_add_f64 v[76:77], v[76:77], -v[84:85]
	;; [unrolled: 2-line block ×3, first 2 shown]
	v_fma_f64 v[126:127], v[80:81], s[10:11], v[122:123]
	v_fma_f64 v[124:125], v[124:125], -0.5, v[70:71]
	v_add_f64 v[70:71], v[78:79], v[86:87]
	v_add_f64 v[78:79], v[78:79], -v[86:87]
	v_fma_f64 v[86:87], v[70:71], -0.5, v[68:69]
	v_fma_f64 v[68:69], v[78:79], s[10:11], v[124:125]
	v_fma_f64 v[78:79], v[78:79], s[24:25], v[124:125]
	;; [unrolled: 1-line block ×3, first 2 shown]
	v_mul_f64 v[70:71], v[68:69], s[24:25]
	v_mul_f64 v[68:69], v[68:69], 0.5
	v_fma_f64 v[76:77], v[76:77], s[10:11], v[86:87]
	v_fma_f64 v[74:75], v[72:73], 0.5, v[70:71]
	v_fma_f64 v[84:85], v[72:73], s[10:11], v[68:69]
	v_fma_f64 v[72:73], v[82:83], s[24:25], v[120:121]
	;; [unrolled: 1-line block ×3, first 2 shown]
	v_add_f64 v[120:121], v[50:51], v[60:61]
	v_add_f64 v[70:71], v[126:127], v[84:85]
	;; [unrolled: 1-line block ×3, first 2 shown]
	v_add_f64 v[72:73], v[72:73], -v[74:75]
	v_add_f64 v[74:75], v[126:127], -v[84:85]
	v_fma_f64 v[84:85], v[80:81], s[24:25], v[122:123]
	v_mul_f64 v[80:81], v[78:79], s[24:25]
	v_mul_f64 v[78:79], v[78:79], -0.5
	v_fma_f64 v[80:81], v[76:77], -0.5, v[80:81]
	v_fma_f64 v[86:87], v[76:77], s[10:11], v[78:79]
	v_add_f64 v[76:77], v[82:83], v[80:81]
	v_add_f64 v[78:79], v[84:85], v[86:87]
	v_add_f64 v[80:81], v[82:83], -v[80:81]
	v_add_f64 v[82:83], v[84:85], -v[86:87]
	ds_read_b128 v[84:87], v164 offset:7680
	s_waitcnt lgkmcnt(0)
	v_fma_f64 v[124:125], v[120:121], -0.5, v[84:85]
	v_add_f64 v[120:121], v[54:55], v[62:63]
	v_add_f64 v[84:85], v[84:85], v[50:51]
	v_fma_f64 v[126:127], v[120:121], -0.5, v[86:87]
	v_add_f64 v[120:121], v[84:85], v[60:61]
	v_add_f64 v[84:85], v[48:49], v[58:59]
	;; [unrolled: 1-line block ×3, first 2 shown]
	v_add_f64 v[60:61], v[50:51], -v[60:61]
	v_add_f64 v[128:129], v[84:85], v[66:67]
	v_add_f64 v[84:85], v[52:53], v[56:57]
	v_add_f64 v[122:123], v[86:87], v[62:63]
	v_add_f64 v[62:63], v[54:55], -v[62:63]
	v_add_f64 v[130:131], v[84:85], v[64:65]
	v_add_f64 v[84:85], v[120:121], v[128:129]
	v_add_f64 v[120:121], v[120:121], -v[128:129]
	v_add_f64 v[128:129], v[56:57], v[64:65]
	v_add_f64 v[56:57], v[56:57], -v[64:65]
	;; [unrolled: 2-line block ×3, first 2 shown]
	v_fma_f64 v[130:131], v[60:61], s[10:11], v[126:127]
	v_fma_f64 v[128:129], v[128:129], -0.5, v[52:53]
	v_add_f64 v[52:53], v[58:59], v[66:67]
	v_add_f64 v[58:59], v[58:59], -v[66:67]
	v_fma_f64 v[66:67], v[52:53], -0.5, v[48:49]
	v_fma_f64 v[48:49], v[58:59], s[10:11], v[128:129]
	v_fma_f64 v[58:59], v[58:59], s[24:25], v[128:129]
	;; [unrolled: 1-line block ×3, first 2 shown]
	v_mul_f64 v[50:51], v[48:49], s[24:25]
	v_mul_f64 v[48:49], v[48:49], 0.5
	v_fma_f64 v[56:57], v[56:57], s[10:11], v[66:67]
	v_fma_f64 v[54:55], v[52:53], 0.5, v[50:51]
	v_fma_f64 v[64:65], v[52:53], s[10:11], v[48:49]
	v_fma_f64 v[52:53], v[62:63], s[24:25], v[124:125]
	;; [unrolled: 1-line block ×3, first 2 shown]
	v_add_f64 v[50:51], v[130:131], v[64:65]
	v_add_f64 v[48:49], v[52:53], v[54:55]
	v_add_f64 v[52:53], v[52:53], -v[54:55]
	v_add_f64 v[54:55], v[130:131], -v[64:65]
	v_fma_f64 v[64:65], v[60:61], s[24:25], v[126:127]
	v_mul_f64 v[60:61], v[58:59], s[24:25]
	v_mul_f64 v[58:59], v[58:59], -0.5
	v_fma_f64 v[60:61], v[56:57], -0.5, v[60:61]
	v_fma_f64 v[66:67], v[56:57], s[10:11], v[58:59]
	v_add_f64 v[56:57], v[62:63], v[60:61]
	v_add_f64 v[58:59], v[64:65], v[66:67]
	v_add_f64 v[60:61], v[62:63], -v[60:61]
	v_add_f64 v[62:63], v[64:65], -v[66:67]
	buffer_load_dword v66, off, s[44:47], 0 offset:36 ; 4-byte Folded Reload
	buffer_load_dword v67, off, s[44:47], 0 offset:40 ; 4-byte Folded Reload
	ds_write_b128 v164, v[16:19] offset:9600
	ds_write_b128 v164, v[20:23] offset:19200
	ds_write_b128 v164, v[12:15] offset:28800
	ds_write_b128 v164, v[4:7] offset:38400
	ds_write_b128 v164, v[8:11] offset:48000
	ds_write_b128 v164, v[24:27] offset:1920
	ds_write_b128 v164, v[32:35] offset:11520
	ds_write_b128 v164, v[44:47] offset:21120
	ds_write_b128 v164, v[28:31] offset:30720
	ds_write_b128 v164, v[40:43] offset:40320
	ds_write_b128 v164, v[36:39] offset:49920
	ds_write_b128 v164, v[88:91] offset:3840
	ds_write_b128 v164, v[96:99] offset:13440
	ds_write_b128 v164, v[104:107] offset:23040
	ds_write_b128 v164, v[92:95] offset:32640
	ds_write_b128 v164, v[100:103] offset:42240
	ds_write_b128 v164, v[108:111] offset:51840
	ds_write_b128 v164, v[112:115] offset:5760
	ds_write_b128 v164, v[68:71] offset:15360
	ds_write_b128 v164, v[76:79] offset:24960
	ds_write_b128 v164, v[116:119] offset:34560
	ds_write_b128 v164, v[72:75] offset:44160
	ds_write_b128 v164, v[80:83] offset:53760
	ds_write_b128 v164, v[84:87] offset:7680
	ds_write_b128 v164, v[48:51] offset:17280
	ds_write_b128 v164, v[56:59] offset:26880
	ds_write_b128 v164, v[120:123] offset:36480
	ds_write_b128 v164, v[52:55] offset:46080
	ds_write_b128 v164, v[60:63] offset:55680
	s_waitcnt vmcnt(0) lgkmcnt(0)
	s_barrier
	ds_read_b128 v[0:3], v164
	buffer_load_dword v10, off, s[44:47], 0 offset:316 ; 4-byte Folded Reload
	buffer_load_dword v11, off, s[44:47], 0 offset:320 ; 4-byte Folded Reload
	;; [unrolled: 1-line block ×4, first 2 shown]
	v_mov_b32_e32 v28, 0xffff3d00
	v_mad_u64_u32 v[64:65], s[6:7], s2, v66, 0
	v_mov_b32_e32 v4, v65
	s_waitcnt vmcnt(0) lgkmcnt(0)
	v_mul_f64 v[5:6], v[12:13], v[2:3]
	v_mad_u64_u32 v[7:8], s[2:3], s3, v66, v[4:5]
	v_mul_f64 v[8:9], v[12:13], v[0:1]
	v_fma_f64 v[0:1], v[10:11], v[0:1], v[5:6]
	buffer_load_dword v6, off, s[44:47], 0 offset:492 ; 4-byte Folded Reload
	v_mov_b32_e32 v4, v10
	v_mov_b32_e32 v5, v11
	;; [unrolled: 1-line block ×3, first 2 shown]
	v_fma_f64 v[8:9], v[4:5], v[2:3], -v[8:9]
	s_waitcnt vmcnt(0)
	v_mad_u64_u32 v[10:11], s[2:3], s0, v6, 0
	s_mov_b32 s2, 0x789abcdf
	s_mov_b32 s3, 0x3f323456
	v_mov_b32_e32 v2, v11
	v_mad_u64_u32 v[11:12], s[6:7], s1, v6, v[2:3]
	ds_read_b128 v[2:5], v164 offset:5760
	buffer_load_dword v18, off, s[44:47], 0 offset:300 ; 4-byte Folded Reload
	buffer_load_dword v19, off, s[44:47], 0 offset:304 ; 4-byte Folded Reload
	;; [unrolled: 1-line block ×4, first 2 shown]
	v_lshlrev_b64 v[12:13], 4, v[64:65]
	v_mul_f64 v[6:7], v[0:1], s[2:3]
	v_mul_f64 v[8:9], v[8:9], s[2:3]
	v_add_co_u32_e32 v1, vcc, s4, v12
	v_mov_b32_e32 v0, s5
	v_addc_co_u32_e32 v0, vcc, v0, v13, vcc
	v_lshlrev_b64 v[10:11], 4, v[10:11]
	s_mul_i32 s4, s1, 0x1680
	s_mul_hi_u32 s5, s0, 0x1680
	s_add_i32 s4, s5, s4
	s_mul_i32 s5, s0, 0x1680
	s_waitcnt vmcnt(0) lgkmcnt(0)
	v_mul_f64 v[14:15], v[20:21], v[4:5]
	v_mul_f64 v[16:17], v[20:21], v[2:3]
	v_fma_f64 v[12:13], v[18:19], v[2:3], v[14:15]
	v_fma_f64 v[14:15], v[18:19], v[4:5], -v[16:17]
	v_add_co_u32_e32 v16, vcc, v1, v10
	v_addc_co_u32_e32 v17, vcc, v0, v11, vcc
	global_store_dwordx4 v[16:17], v[6:9], off
	ds_read_b128 v[2:5], v164 offset:11520
	v_mul_f64 v[6:7], v[12:13], s[2:3]
	v_mul_f64 v[8:9], v[14:15], s[2:3]
	buffer_load_dword v12, off, s[44:47], 0 offset:268 ; 4-byte Folded Reload
	buffer_load_dword v13, off, s[44:47], 0 offset:272 ; 4-byte Folded Reload
	buffer_load_dword v14, off, s[44:47], 0 offset:276 ; 4-byte Folded Reload
	buffer_load_dword v15, off, s[44:47], 0 offset:280 ; 4-byte Folded Reload
	v_add_co_u32_e32 v16, vcc, s5, v16
	s_waitcnt vmcnt(0) lgkmcnt(0)
	v_mul_f64 v[10:11], v[14:15], v[4:5]
	v_mov_b32_e32 v19, v13
	v_mul_f64 v[14:15], v[14:15], v[2:3]
	v_mov_b32_e32 v18, v12
	v_fma_f64 v[2:3], v[12:13], v[2:3], v[10:11]
	ds_read_b128 v[10:13], v164 offset:17280
	buffer_load_dword v20, off, s[44:47], 0 offset:236 ; 4-byte Folded Reload
	buffer_load_dword v21, off, s[44:47], 0 offset:240 ; 4-byte Folded Reload
	;; [unrolled: 1-line block ×4, first 2 shown]
	v_fma_f64 v[4:5], v[18:19], v[4:5], -v[14:15]
	v_mov_b32_e32 v14, s4
	v_addc_co_u32_e32 v17, vcc, v17, v14, vcc
	global_store_dwordx4 v[16:17], v[6:9], off
	ds_read_b128 v[6:9], v164 offset:23040
	v_mul_f64 v[2:3], v[2:3], s[2:3]
	v_add_co_u32_e32 v16, vcc, s5, v16
	v_mul_f64 v[4:5], v[4:5], s[2:3]
	s_waitcnt vmcnt(1) lgkmcnt(1)
	v_mul_f64 v[14:15], v[22:23], v[12:13]
	v_mul_f64 v[18:19], v[22:23], v[10:11]
	v_fma_f64 v[10:11], v[20:21], v[10:11], v[14:15]
	v_fma_f64 v[12:13], v[20:21], v[12:13], -v[18:19]
	buffer_load_dword v20, off, s[44:47], 0 offset:220 ; 4-byte Folded Reload
	buffer_load_dword v21, off, s[44:47], 0 offset:224 ; 4-byte Folded Reload
	buffer_load_dword v22, off, s[44:47], 0 offset:228 ; 4-byte Folded Reload
	buffer_load_dword v23, off, s[44:47], 0 offset:232 ; 4-byte Folded Reload
	v_mov_b32_e32 v18, s4
	v_addc_co_u32_e32 v17, vcc, v17, v18, vcc
	global_store_dwordx4 v[16:17], v[2:5], off
	v_add_co_u32_e32 v16, vcc, s5, v16
	v_mul_f64 v[2:3], v[10:11], s[2:3]
	v_mul_f64 v[4:5], v[12:13], s[2:3]
	ds_read_b128 v[10:13], v164 offset:28800
	s_waitcnt vmcnt(1) lgkmcnt(1)
	v_mul_f64 v[14:15], v[22:23], v[8:9]
	v_mul_f64 v[18:19], v[22:23], v[6:7]
	v_fma_f64 v[6:7], v[20:21], v[6:7], v[14:15]
	v_fma_f64 v[8:9], v[20:21], v[8:9], -v[18:19]
	buffer_load_dword v20, off, s[44:47], 0 offset:204 ; 4-byte Folded Reload
	buffer_load_dword v21, off, s[44:47], 0 offset:208 ; 4-byte Folded Reload
	buffer_load_dword v22, off, s[44:47], 0 offset:212 ; 4-byte Folded Reload
	buffer_load_dword v23, off, s[44:47], 0 offset:216 ; 4-byte Folded Reload
	v_mov_b32_e32 v14, s4
	v_addc_co_u32_e32 v17, vcc, v17, v14, vcc
	global_store_dwordx4 v[16:17], v[2:5], off
	v_add_co_u32_e32 v16, vcc, s5, v16
	v_mul_f64 v[2:3], v[6:7], s[2:3]
	v_mul_f64 v[4:5], v[8:9], s[2:3]
	ds_read_b128 v[6:9], v164 offset:34560
	;; [unrolled: 16-line block ×7, first 2 shown]
	s_waitcnt vmcnt(1) lgkmcnt(1)
	v_mul_f64 v[14:15], v[22:23], v[8:9]
	v_mul_f64 v[18:19], v[22:23], v[6:7]
	v_fma_f64 v[6:7], v[20:21], v[6:7], v[14:15]
	v_fma_f64 v[8:9], v[20:21], v[8:9], -v[18:19]
	buffer_load_dword v20, off, s[44:47], 0 offset:460 ; 4-byte Folded Reload
	buffer_load_dword v21, off, s[44:47], 0 offset:464 ; 4-byte Folded Reload
	;; [unrolled: 1-line block ×4, first 2 shown]
	v_mov_b32_e32 v14, s4
	v_addc_co_u32_e32 v17, vcc, v17, v14, vcc
	global_store_dwordx4 v[16:17], v[2:5], off
	v_mad_u64_u32 v[16:17], s[6:7], s0, v28, v[16:17]
	v_mul_f64 v[2:3], v[6:7], s[2:3]
	v_mul_f64 v[4:5], v[8:9], s[2:3]
	ds_read_b128 v[6:9], v164 offset:13440
	s_mul_i32 s6, s1, 0xffff3d00
	s_sub_i32 s6, s6, s0
	v_add_u32_e32 v17, s6, v17
	s_waitcnt vmcnt(1) lgkmcnt(1)
	v_mul_f64 v[14:15], v[22:23], v[12:13]
	v_mul_f64 v[18:19], v[22:23], v[10:11]
	v_fma_f64 v[10:11], v[20:21], v[10:11], v[14:15]
	v_fma_f64 v[12:13], v[20:21], v[12:13], -v[18:19]
	buffer_load_dword v20, off, s[44:47], 0 offset:444 ; 4-byte Folded Reload
	buffer_load_dword v21, off, s[44:47], 0 offset:448 ; 4-byte Folded Reload
	;; [unrolled: 1-line block ×4, first 2 shown]
	s_waitcnt vmcnt(0) lgkmcnt(0)
	v_mul_f64 v[14:15], v[22:23], v[8:9]
	v_mul_f64 v[18:19], v[22:23], v[6:7]
	global_store_dwordx4 v[16:17], v[2:5], off
	v_add_co_u32_e32 v16, vcc, s5, v16
	v_mul_f64 v[2:3], v[10:11], s[2:3]
	v_mul_f64 v[4:5], v[12:13], s[2:3]
	ds_read_b128 v[10:13], v164 offset:19200
	v_fma_f64 v[6:7], v[20:21], v[6:7], v[14:15]
	v_fma_f64 v[8:9], v[20:21], v[8:9], -v[18:19]
	buffer_load_dword v20, off, s[44:47], 0 offset:412 ; 4-byte Folded Reload
	buffer_load_dword v21, off, s[44:47], 0 offset:416 ; 4-byte Folded Reload
	;; [unrolled: 1-line block ×4, first 2 shown]
	v_mov_b32_e32 v14, s4
	v_addc_co_u32_e32 v17, vcc, v17, v14, vcc
	global_store_dwordx4 v[16:17], v[2:5], off
	v_add_co_u32_e32 v16, vcc, s5, v16
	v_mul_f64 v[2:3], v[6:7], s[2:3]
	v_mul_f64 v[4:5], v[8:9], s[2:3]
	ds_read_b128 v[6:9], v164 offset:24960
	s_waitcnt vmcnt(1) lgkmcnt(1)
	v_mul_f64 v[14:15], v[22:23], v[12:13]
	v_mul_f64 v[18:19], v[22:23], v[10:11]
	v_fma_f64 v[10:11], v[20:21], v[10:11], v[14:15]
	v_fma_f64 v[12:13], v[20:21], v[12:13], -v[18:19]
	buffer_load_dword v21, off, s[44:47], 0 offset:428 ; 4-byte Folded Reload
	buffer_load_dword v22, off, s[44:47], 0 offset:432 ; 4-byte Folded Reload
	;; [unrolled: 1-line block ×4, first 2 shown]
	v_mov_b32_e32 v20, s4
	v_addc_co_u32_e32 v17, vcc, v17, v20, vcc
	global_store_dwordx4 v[16:17], v[2:5], off
	s_waitcnt vmcnt(1) lgkmcnt(0)
	v_mul_f64 v[14:15], v[23:24], v[8:9]
	v_mul_f64 v[2:3], v[10:11], s[2:3]
	;; [unrolled: 1-line block ×4, first 2 shown]
	v_fma_f64 v[10:11], v[21:22], v[6:7], v[14:15]
	v_add_co_u32_e32 v14, vcc, s5, v16
	v_mov_b32_e32 v15, s4
	v_addc_co_u32_e32 v15, vcc, v17, v15, vcc
	global_store_dwordx4 v[14:15], v[2:5], off
	v_fma_f64 v[12:13], v[21:22], v[8:9], -v[18:19]
	ds_read_b128 v[6:9], v164 offset:30720
	buffer_load_dword v21, off, s[44:47], 0 offset:396 ; 4-byte Folded Reload
	buffer_load_dword v22, off, s[44:47], 0 offset:400 ; 4-byte Folded Reload
	;; [unrolled: 1-line block ×4, first 2 shown]
	v_mul_f64 v[2:3], v[10:11], s[2:3]
	buffer_load_dword v20, off, s[44:47], 0 offset:16 ; 4-byte Folded Reload
	v_add_co_u32_e32 v14, vcc, s5, v14
	v_mul_f64 v[4:5], v[12:13], s[2:3]
	v_mov_b32_e32 v12, s4
	v_addc_co_u32_e32 v15, vcc, v15, v12, vcc
	s_waitcnt vmcnt(1) lgkmcnt(0)
	v_mul_f64 v[10:11], v[23:24], v[8:9]
	v_mul_f64 v[16:17], v[23:24], v[6:7]
	s_waitcnt vmcnt(0)
	v_mad_u64_u32 v[18:19], s[8:9], s0, v20, 0
	v_fma_f64 v[6:7], v[21:22], v[6:7], v[10:11]
	ds_read_b128 v[10:13], v164 offset:36480
	buffer_load_dword v24, off, s[44:47], 0 offset:380 ; 4-byte Folded Reload
	buffer_load_dword v25, off, s[44:47], 0 offset:384 ; 4-byte Folded Reload
	buffer_load_dword v26, off, s[44:47], 0 offset:388 ; 4-byte Folded Reload
	buffer_load_dword v27, off, s[44:47], 0 offset:392 ; 4-byte Folded Reload
	v_fma_f64 v[8:9], v[21:22], v[8:9], -v[16:17]
	v_mov_b32_e32 v16, v19
	v_mad_u64_u32 v[16:17], s[8:9], s1, v20, v[16:17]
	global_store_dwordx4 v[14:15], v[2:5], off
	s_mulk_i32 s1, 0x2d00
	v_mul_f64 v[2:3], v[6:7], s[2:3]
	v_mov_b32_e32 v19, v16
	v_mul_f64 v[4:5], v[8:9], s[2:3]
	ds_read_b128 v[6:9], v164 offset:42240
	v_lshlrev_b64 v[16:17], 4, v[18:19]
	v_add_co_u32_e32 v16, vcc, v1, v16
	v_addc_co_u32_e32 v17, vcc, v0, v17, vcc
	v_mov_b32_e32 v0, 0x2d00
	v_mad_u64_u32 v[14:15], s[8:9], s0, v0, v[14:15]
	v_add_u32_e32 v15, s1, v15
	s_waitcnt vmcnt(1) lgkmcnt(1)
	v_mul_f64 v[20:21], v[26:27], v[12:13]
	v_mul_f64 v[22:23], v[26:27], v[10:11]
	v_fma_f64 v[10:11], v[24:25], v[10:11], v[20:21]
	v_fma_f64 v[12:13], v[24:25], v[12:13], -v[22:23]
	buffer_load_dword v22, off, s[44:47], 0 offset:364 ; 4-byte Folded Reload
	buffer_load_dword v23, off, s[44:47], 0 offset:368 ; 4-byte Folded Reload
	;; [unrolled: 1-line block ×4, first 2 shown]
	v_mul_f64 v[10:11], v[10:11], s[2:3]
	v_mul_f64 v[12:13], v[12:13], s[2:3]
	global_store_dwordx4 v[16:17], v[2:5], off
	global_store_dwordx4 v[14:15], v[10:13], off
	v_add_co_u32_e32 v14, vcc, s5, v14
	s_waitcnt vmcnt(2) lgkmcnt(0)
	v_mul_f64 v[18:19], v[24:25], v[8:9]
	v_mul_f64 v[20:21], v[24:25], v[6:7]
	v_fma_f64 v[0:1], v[22:23], v[6:7], v[18:19]
	v_fma_f64 v[18:19], v[22:23], v[8:9], -v[20:21]
	ds_read_b128 v[6:9], v164 offset:48000
	buffer_load_dword v10, off, s[44:47], 0 offset:348 ; 4-byte Folded Reload
	buffer_load_dword v11, off, s[44:47], 0 offset:352 ; 4-byte Folded Reload
	;; [unrolled: 1-line block ×4, first 2 shown]
	v_mul_f64 v[0:1], v[0:1], s[2:3]
	v_mul_f64 v[2:3], v[18:19], s[2:3]
	v_mov_b32_e32 v18, s4
	v_addc_co_u32_e32 v15, vcc, v15, v18, vcc
	s_waitcnt vmcnt(0) lgkmcnt(0)
	v_mul_f64 v[4:5], v[12:13], v[8:9]
	v_mul_f64 v[16:17], v[12:13], v[6:7]
	v_mov_b32_e32 v21, v11
	v_mov_b32_e32 v20, v10
	ds_read_b128 v[10:13], v164 offset:53760
	v_fma_f64 v[4:5], v[20:21], v[6:7], v[4:5]
	v_fma_f64 v[6:7], v[20:21], v[8:9], -v[16:17]
	buffer_load_dword v19, off, s[44:47], 0 offset:332 ; 4-byte Folded Reload
	buffer_load_dword v20, off, s[44:47], 0 offset:336 ; 4-byte Folded Reload
	;; [unrolled: 1-line block ×4, first 2 shown]
	v_mul_f64 v[4:5], v[4:5], s[2:3]
	global_store_dwordx4 v[14:15], v[0:3], off
	ds_read_b128 v[0:3], v164 offset:3840
	v_mul_f64 v[6:7], v[6:7], s[2:3]
	s_waitcnt vmcnt(1) lgkmcnt(1)
	v_mul_f64 v[8:9], v[21:22], v[12:13]
	v_mul_f64 v[16:17], v[21:22], v[10:11]
	buffer_load_dword v22, off, s[44:47], 0 offset:284 ; 4-byte Folded Reload
	buffer_load_dword v23, off, s[44:47], 0 offset:288 ; 4-byte Folded Reload
	;; [unrolled: 1-line block ×4, first 2 shown]
	v_fma_f64 v[8:9], v[19:20], v[10:11], v[8:9]
	v_fma_f64 v[10:11], v[19:20], v[12:13], -v[16:17]
	v_add_co_u32_e32 v20, vcc, s5, v14
	v_mov_b32_e32 v14, s4
	v_addc_co_u32_e32 v21, vcc, v15, v14, vcc
	v_mul_f64 v[8:9], v[8:9], s[2:3]
	v_mul_f64 v[10:11], v[10:11], s[2:3]
	s_waitcnt vmcnt(0) lgkmcnt(0)
	v_mul_f64 v[12:13], v[24:25], v[2:3]
	v_mul_f64 v[16:17], v[24:25], v[0:1]
	v_fma_f64 v[0:1], v[22:23], v[0:1], v[12:13]
	ds_read_b128 v[12:15], v164 offset:9600
	buffer_load_dword v29, off, s[44:47], 0 offset:252 ; 4-byte Folded Reload
	buffer_load_dword v30, off, s[44:47], 0 offset:256 ; 4-byte Folded Reload
	buffer_load_dword v31, off, s[44:47], 0 offset:260 ; 4-byte Folded Reload
	buffer_load_dword v32, off, s[44:47], 0 offset:264 ; 4-byte Folded Reload
	v_fma_f64 v[2:3], v[22:23], v[2:3], -v[16:17]
	v_add_co_u32_e32 v22, vcc, s5, v20
	v_mov_b32_e32 v16, s4
	v_addc_co_u32_e32 v23, vcc, v21, v16, vcc
	ds_read_b128 v[16:19], v164 offset:15360
	global_store_dwordx4 v[20:21], v[4:7], off
	global_store_dwordx4 v[22:23], v[8:11], off
	buffer_load_dword v6, off, s[44:47], 0 offset:156 ; 4-byte Folded Reload
	s_nop 0
	buffer_load_dword v7, off, s[44:47], 0 offset:160 ; 4-byte Folded Reload
	buffer_load_dword v8, off, s[44:47], 0 offset:164 ; 4-byte Folded Reload
	;; [unrolled: 1-line block ×3, first 2 shown]
	v_mul_f64 v[0:1], v[0:1], s[2:3]
	v_mul_f64 v[2:3], v[2:3], s[2:3]
	s_waitcnt vmcnt(6) lgkmcnt(1)
	v_mul_f64 v[24:25], v[31:32], v[14:15]
	v_mul_f64 v[26:27], v[31:32], v[12:13]
	v_mov_b32_e32 v31, v30
	v_mov_b32_e32 v30, v29
	v_mad_u64_u32 v[28:29], s[0:1], s0, v28, v[22:23]
	v_fma_f64 v[12:13], v[30:31], v[12:13], v[24:25]
	v_fma_f64 v[14:15], v[30:31], v[14:15], -v[26:27]
	s_waitcnt vmcnt(0) lgkmcnt(0)
	v_mul_f64 v[4:5], v[8:9], v[18:19]
	v_mul_f64 v[8:9], v[8:9], v[16:17]
	v_add_u32_e32 v29, s6, v29
	global_store_dwordx4 v[28:29], v[0:3], off
	v_fma_f64 v[10:11], v[6:7], v[16:17], v[4:5]
	v_mul_f64 v[0:1], v[12:13], s[2:3]
	v_mul_f64 v[2:3], v[14:15], s[2:3]
	v_mov_b32_e32 v14, v7
	v_mov_b32_e32 v13, v6
	ds_read_b128 v[4:7], v164 offset:21120
	v_fma_f64 v[8:9], v[13:14], v[18:19], -v[8:9]
	buffer_load_dword v18, off, s[44:47], 0 offset:124 ; 4-byte Folded Reload
	buffer_load_dword v19, off, s[44:47], 0 offset:128 ; 4-byte Folded Reload
	;; [unrolled: 1-line block ×4, first 2 shown]
	v_add_co_u32_e32 v12, vcc, s5, v28
	v_mov_b32_e32 v13, s4
	v_addc_co_u32_e32 v13, vcc, v29, v13, vcc
	global_store_dwordx4 v[12:13], v[0:3], off
	v_add_co_u32_e32 v12, vcc, s5, v12
	v_mul_f64 v[0:1], v[10:11], s[2:3]
	v_mul_f64 v[2:3], v[8:9], s[2:3]
	ds_read_b128 v[8:11], v164 offset:26880
	s_waitcnt vmcnt(1) lgkmcnt(1)
	v_mul_f64 v[14:15], v[20:21], v[6:7]
	v_mul_f64 v[16:17], v[20:21], v[4:5]
	v_fma_f64 v[4:5], v[18:19], v[4:5], v[14:15]
	v_fma_f64 v[6:7], v[18:19], v[6:7], -v[16:17]
	buffer_load_dword v18, off, s[44:47], 0 offset:92 ; 4-byte Folded Reload
	buffer_load_dword v19, off, s[44:47], 0 offset:96 ; 4-byte Folded Reload
	buffer_load_dword v20, off, s[44:47], 0 offset:100 ; 4-byte Folded Reload
	buffer_load_dword v21, off, s[44:47], 0 offset:104 ; 4-byte Folded Reload
	v_mov_b32_e32 v16, s4
	v_addc_co_u32_e32 v13, vcc, v13, v16, vcc
	global_store_dwordx4 v[12:13], v[0:3], off
	v_add_co_u32_e32 v12, vcc, s5, v12
	v_mul_f64 v[0:1], v[4:5], s[2:3]
	v_mul_f64 v[2:3], v[6:7], s[2:3]
	ds_read_b128 v[4:7], v164 offset:32640
	s_waitcnt vmcnt(1) lgkmcnt(1)
	v_mul_f64 v[14:15], v[20:21], v[10:11]
	v_mul_f64 v[16:17], v[20:21], v[8:9]
	v_fma_f64 v[8:9], v[18:19], v[8:9], v[14:15]
	v_fma_f64 v[10:11], v[18:19], v[10:11], -v[16:17]
	buffer_load_dword v18, off, s[44:47], 0 offset:60 ; 4-byte Folded Reload
	buffer_load_dword v19, off, s[44:47], 0 offset:64 ; 4-byte Folded Reload
	buffer_load_dword v20, off, s[44:47], 0 offset:68 ; 4-byte Folded Reload
	buffer_load_dword v21, off, s[44:47], 0 offset:72 ; 4-byte Folded Reload
	;; [unrolled: 16-line block ×4, first 2 shown]
	v_mov_b32_e32 v14, s4
	v_addc_co_u32_e32 v13, vcc, v13, v14, vcc
	global_store_dwordx4 v[12:13], v[0:3], off
	v_add_co_u32_e32 v12, vcc, s5, v12
	v_mul_f64 v[0:1], v[8:9], s[2:3]
	v_mul_f64 v[2:3], v[10:11], s[2:3]
	v_mov_b32_e32 v18, s4
	v_addc_co_u32_e32 v13, vcc, v13, v18, vcc
	global_store_dwordx4 v[12:13], v[0:3], off
	ds_read_b128 v[0:3], v164 offset:55680
	v_add_co_u32_e32 v12, vcc, s5, v12
	s_waitcnt vmcnt(2) lgkmcnt(1)
	v_mul_f64 v[14:15], v[21:22], v[6:7]
	v_mul_f64 v[16:17], v[21:22], v[4:5]
	v_fma_f64 v[8:9], v[19:20], v[4:5], v[14:15]
	v_fma_f64 v[10:11], v[19:20], v[6:7], -v[16:17]
	ds_read_b128 v[4:7], v164 offset:49920
	buffer_load_dword v18, off, s[44:47], 0 offset:20 ; 4-byte Folded Reload
	buffer_load_dword v19, off, s[44:47], 0 offset:24 ; 4-byte Folded Reload
	;; [unrolled: 1-line block ×4, first 2 shown]
	buffer_load_dword v24, off, s[44:47], 0 ; 4-byte Folded Reload
	buffer_load_dword v25, off, s[44:47], 0 offset:4 ; 4-byte Folded Reload
	buffer_load_dword v26, off, s[44:47], 0 offset:8 ; 4-byte Folded Reload
	;; [unrolled: 1-line block ×3, first 2 shown]
	v_mul_f64 v[8:9], v[8:9], s[2:3]
	v_mul_f64 v[10:11], v[10:11], s[2:3]
	s_waitcnt vmcnt(4) lgkmcnt(0)
	v_mul_f64 v[14:15], v[20:21], v[6:7]
	v_mul_f64 v[16:17], v[20:21], v[4:5]
	v_mov_b32_e32 v23, v19
	v_mov_b32_e32 v22, v18
	s_waitcnt vmcnt(0)
	v_mul_f64 v[18:19], v[26:27], v[2:3]
	v_mul_f64 v[20:21], v[26:27], v[0:1]
	v_fma_f64 v[4:5], v[22:23], v[4:5], v[14:15]
	v_fma_f64 v[6:7], v[22:23], v[6:7], -v[16:17]
	v_mov_b32_e32 v14, s4
	v_addc_co_u32_e32 v13, vcc, v13, v14, vcc
	v_fma_f64 v[14:15], v[24:25], v[0:1], v[18:19]
	v_fma_f64 v[16:17], v[24:25], v[2:3], -v[20:21]
	global_store_dwordx4 v[12:13], v[8:11], off
	v_mul_f64 v[0:1], v[4:5], s[2:3]
	v_mul_f64 v[2:3], v[6:7], s[2:3]
	v_add_co_u32_e32 v8, vcc, s5, v12
	v_mov_b32_e32 v9, s4
	v_mul_f64 v[4:5], v[14:15], s[2:3]
	v_mul_f64 v[6:7], v[16:17], s[2:3]
	v_addc_co_u32_e32 v9, vcc, v13, v9, vcc
	global_store_dwordx4 v[8:9], v[0:3], off
	s_nop 0
	v_add_co_u32_e32 v0, vcc, s5, v8
	v_mov_b32_e32 v1, s4
	v_addc_co_u32_e32 v1, vcc, v9, v1, vcc
	global_store_dwordx4 v[0:1], v[4:7], off
.LBB0_2:
	s_endpgm
	.section	.rodata,"a",@progbits
	.p2align	6, 0x0
	.amdhsa_kernel bluestein_single_fwd_len3600_dim1_dp_op_CI_CI
		.amdhsa_group_segment_fixed_size 57600
		.amdhsa_private_segment_fixed_size 1400
		.amdhsa_kernarg_size 104
		.amdhsa_user_sgpr_count 6
		.amdhsa_user_sgpr_private_segment_buffer 1
		.amdhsa_user_sgpr_dispatch_ptr 0
		.amdhsa_user_sgpr_queue_ptr 0
		.amdhsa_user_sgpr_kernarg_segment_ptr 1
		.amdhsa_user_sgpr_dispatch_id 0
		.amdhsa_user_sgpr_flat_scratch_init 0
		.amdhsa_user_sgpr_private_segment_size 0
		.amdhsa_uses_dynamic_stack 0
		.amdhsa_system_sgpr_private_segment_wavefront_offset 1
		.amdhsa_system_sgpr_workgroup_id_x 1
		.amdhsa_system_sgpr_workgroup_id_y 0
		.amdhsa_system_sgpr_workgroup_id_z 0
		.amdhsa_system_sgpr_workgroup_info 0
		.amdhsa_system_vgpr_workitem_id 0
		.amdhsa_next_free_vgpr 256
		.amdhsa_next_free_sgpr 48
		.amdhsa_reserve_vcc 1
		.amdhsa_reserve_flat_scratch 0
		.amdhsa_float_round_mode_32 0
		.amdhsa_float_round_mode_16_64 0
		.amdhsa_float_denorm_mode_32 3
		.amdhsa_float_denorm_mode_16_64 3
		.amdhsa_dx10_clamp 1
		.amdhsa_ieee_mode 1
		.amdhsa_fp16_overflow 0
		.amdhsa_exception_fp_ieee_invalid_op 0
		.amdhsa_exception_fp_denorm_src 0
		.amdhsa_exception_fp_ieee_div_zero 0
		.amdhsa_exception_fp_ieee_overflow 0
		.amdhsa_exception_fp_ieee_underflow 0
		.amdhsa_exception_fp_ieee_inexact 0
		.amdhsa_exception_int_div_zero 0
	.end_amdhsa_kernel
	.text
.Lfunc_end0:
	.size	bluestein_single_fwd_len3600_dim1_dp_op_CI_CI, .Lfunc_end0-bluestein_single_fwd_len3600_dim1_dp_op_CI_CI
                                        ; -- End function
	.section	.AMDGPU.csdata,"",@progbits
; Kernel info:
; codeLenInByte = 46324
; NumSgprs: 52
; NumVgprs: 256
; ScratchSize: 1400
; MemoryBound: 0
; FloatMode: 240
; IeeeMode: 1
; LDSByteSize: 57600 bytes/workgroup (compile time only)
; SGPRBlocks: 6
; VGPRBlocks: 63
; NumSGPRsForWavesPerEU: 52
; NumVGPRsForWavesPerEU: 256
; Occupancy: 1
; WaveLimiterHint : 1
; COMPUTE_PGM_RSRC2:SCRATCH_EN: 1
; COMPUTE_PGM_RSRC2:USER_SGPR: 6
; COMPUTE_PGM_RSRC2:TRAP_HANDLER: 0
; COMPUTE_PGM_RSRC2:TGID_X_EN: 1
; COMPUTE_PGM_RSRC2:TGID_Y_EN: 0
; COMPUTE_PGM_RSRC2:TGID_Z_EN: 0
; COMPUTE_PGM_RSRC2:TIDIG_COMP_CNT: 0
	.type	__hip_cuid_17c889cf2da41e7,@object ; @__hip_cuid_17c889cf2da41e7
	.section	.bss,"aw",@nobits
	.globl	__hip_cuid_17c889cf2da41e7
__hip_cuid_17c889cf2da41e7:
	.byte	0                               ; 0x0
	.size	__hip_cuid_17c889cf2da41e7, 1

	.ident	"AMD clang version 19.0.0git (https://github.com/RadeonOpenCompute/llvm-project roc-6.4.0 25133 c7fe45cf4b819c5991fe208aaa96edf142730f1d)"
	.section	".note.GNU-stack","",@progbits
	.addrsig
	.addrsig_sym __hip_cuid_17c889cf2da41e7
	.amdgpu_metadata
---
amdhsa.kernels:
  - .args:
      - .actual_access:  read_only
        .address_space:  global
        .offset:         0
        .size:           8
        .value_kind:     global_buffer
      - .actual_access:  read_only
        .address_space:  global
        .offset:         8
        .size:           8
        .value_kind:     global_buffer
      - .actual_access:  read_only
        .address_space:  global
        .offset:         16
        .size:           8
        .value_kind:     global_buffer
      - .actual_access:  read_only
        .address_space:  global
        .offset:         24
        .size:           8
        .value_kind:     global_buffer
      - .actual_access:  read_only
        .address_space:  global
        .offset:         32
        .size:           8
        .value_kind:     global_buffer
      - .offset:         40
        .size:           8
        .value_kind:     by_value
      - .address_space:  global
        .offset:         48
        .size:           8
        .value_kind:     global_buffer
      - .address_space:  global
        .offset:         56
        .size:           8
        .value_kind:     global_buffer
      - .address_space:  global
        .offset:         64
        .size:           8
        .value_kind:     global_buffer
      - .address_space:  global
        .offset:         72
        .size:           8
        .value_kind:     global_buffer
      - .offset:         80
        .size:           4
        .value_kind:     by_value
      - .address_space:  global
        .offset:         88
        .size:           8
        .value_kind:     global_buffer
      - .address_space:  global
        .offset:         96
        .size:           8
        .value_kind:     global_buffer
    .group_segment_fixed_size: 57600
    .kernarg_segment_align: 8
    .kernarg_segment_size: 104
    .language:       OpenCL C
    .language_version:
      - 2
      - 0
    .max_flat_workgroup_size: 120
    .name:           bluestein_single_fwd_len3600_dim1_dp_op_CI_CI
    .private_segment_fixed_size: 1400
    .sgpr_count:     52
    .sgpr_spill_count: 0
    .symbol:         bluestein_single_fwd_len3600_dim1_dp_op_CI_CI.kd
    .uniform_work_group_size: 1
    .uses_dynamic_stack: false
    .vgpr_count:     256
    .vgpr_spill_count: 349
    .wavefront_size: 64
amdhsa.target:   amdgcn-amd-amdhsa--gfx906
amdhsa.version:
  - 1
  - 2
...

	.end_amdgpu_metadata
